;; amdgpu-corpus repo=ROCm/rocFFT kind=compiled arch=gfx1100 opt=O3
	.text
	.amdgcn_target "amdgcn-amd-amdhsa--gfx1100"
	.amdhsa_code_object_version 6
	.protected	fft_rtc_fwd_len169_factors_13_13_wgs_156_tpt_13_dp_ip_CI_sbcc_twdbase6_3step_dirReg_intrinsicReadWrite ; -- Begin function fft_rtc_fwd_len169_factors_13_13_wgs_156_tpt_13_dp_ip_CI_sbcc_twdbase6_3step_dirReg_intrinsicReadWrite
	.globl	fft_rtc_fwd_len169_factors_13_13_wgs_156_tpt_13_dp_ip_CI_sbcc_twdbase6_3step_dirReg_intrinsicReadWrite
	.p2align	8
	.type	fft_rtc_fwd_len169_factors_13_13_wgs_156_tpt_13_dp_ip_CI_sbcc_twdbase6_3step_dirReg_intrinsicReadWrite,@function
fft_rtc_fwd_len169_factors_13_13_wgs_156_tpt_13_dp_ip_CI_sbcc_twdbase6_3step_dirReg_intrinsicReadWrite: ; @fft_rtc_fwd_len169_factors_13_13_wgs_156_tpt_13_dp_ip_CI_sbcc_twdbase6_3step_dirReg_intrinsicReadWrite
; %bb.0:
	s_mov_b32 s16, s15
	s_clause 0x2
	s_load_b64 s[12:13], s[0:1], 0x58
	s_load_b64 s[14:15], s[0:1], 0x0
	s_load_b256 s[0:7], s[0:1], 0x8
	s_mov_b32 s8, exec_lo
	v_cmpx_gt_u32_e32 0xc0, v0
	s_cbranch_execz .LBB0_3
; %bb.1:
	v_lshlrev_b32_e32 v5, 4, v0
	v_add_co_u32 v1, s9, 0xffffff64, v0
	s_delay_alu instid0(VALU_DEP_1) | instskip(SKIP_1) | instid1(VALU_DEP_3)
	v_add_co_ci_u32_e64 v2, null, 0, -1, s9
	s_waitcnt lgkmcnt(0)
	v_add_co_u32 v3, s0, s0, v5
	s_delay_alu instid0(VALU_DEP_1)
	v_add_co_ci_u32_e64 v4, null, s1, 0, s0
	v_add3_u32 v5, v5, 0, 0x7ec0
	s_mov_b32 s1, 0
	.p2align	6
.LBB0_2:                                ; =>This Inner Loop Header: Depth=1
	global_load_b128 v[6:9], v[3:4], off
	v_add_co_u32 v1, vcc_lo, 0x9c, v1
	v_add_co_ci_u32_e32 v2, vcc_lo, 0, v2, vcc_lo
	v_add_co_u32 v3, vcc_lo, 0x9c0, v3
	v_add_co_ci_u32_e32 v4, vcc_lo, 0, v4, vcc_lo
	s_delay_alu instid0(VALU_DEP_3) | instskip(NEXT) | instid1(VALU_DEP_1)
	v_cmp_lt_u64_e64 s0, 35, v[1:2]
	s_or_b32 s1, s0, s1
	s_waitcnt vmcnt(0)
	ds_store_2addr_b64 v5, v[6:7], v[8:9] offset1:1
	v_add_nc_u32_e32 v5, 0x9c0, v5
	s_and_not1_b32 exec_lo, exec_lo, s1
	s_cbranch_execnz .LBB0_2
.LBB0_3:
	s_or_b32 exec_lo, exec_lo, s8
	s_waitcnt lgkmcnt(0)
	s_load_b64 s[0:1], s[4:5], 0x8
	s_waitcnt lgkmcnt(0)
	s_add_u32 s8, s0, -1
	s_addc_u32 s9, s1, -1
	s_add_u32 s10, 0, 0x55540000
	s_addc_u32 s11, 0, 0x55
	s_mul_hi_u32 s18, s10, -12
	s_add_i32 s11, s11, 0x15555500
	s_sub_i32 s18, s18, s10
	s_mul_i32 s20, s11, -12
	s_mul_i32 s17, s10, -12
	s_add_i32 s18, s18, s20
	s_mul_hi_u32 s19, s10, s17
	s_mul_i32 s22, s10, s18
	s_mul_hi_u32 s20, s10, s18
	s_mul_hi_u32 s21, s11, s17
	s_mul_i32 s17, s11, s17
	s_add_u32 s19, s19, s22
	s_addc_u32 s20, 0, s20
	s_mul_hi_u32 s23, s11, s18
	s_add_u32 s17, s19, s17
	s_mul_i32 s18, s11, s18
	s_addc_u32 s17, s20, s21
	s_addc_u32 s19, s23, 0
	s_add_u32 s17, s17, s18
	s_delay_alu instid0(SALU_CYCLE_1) | instskip(SKIP_3) | instid1(VALU_DEP_1)
	v_add_co_u32 v1, s10, s10, s17
	s_addc_u32 s17, 0, s19
	s_cmp_lg_u32 s10, 0
	s_addc_u32 s10, s11, s17
	v_readfirstlane_b32 s11, v1
	s_mul_i32 s18, s8, s10
	s_mul_hi_u32 s17, s8, s10
	s_mul_hi_u32 s19, s9, s10
	s_mul_i32 s10, s9, s10
	s_mul_hi_u32 s20, s8, s11
	s_mul_hi_u32 s21, s9, s11
	s_mul_i32 s11, s9, s11
	s_add_u32 s18, s20, s18
	s_addc_u32 s17, 0, s17
	s_add_u32 s11, s18, s11
	s_addc_u32 s11, s17, s21
	s_addc_u32 s17, s19, 0
	s_add_u32 s10, s11, s10
	s_addc_u32 s11, 0, s17
	s_mul_i32 s18, s10, 12
	s_add_u32 s17, s10, 1
	v_sub_co_u32 v1, s8, s8, s18
	s_mul_hi_u32 s18, s10, 12
	s_addc_u32 s19, s11, 0
	s_mul_i32 s20, s11, 12
	s_delay_alu instid0(VALU_DEP_1)
	v_sub_co_u32 v2, s21, v1, 12
	s_add_u32 s22, s10, 2
	s_addc_u32 s23, s11, 0
	s_add_i32 s18, s18, s20
	s_cmp_lg_u32 s8, 0
	v_readfirstlane_b32 s8, v2
	s_subb_u32 s9, s9, s18
	s_cmp_lg_u32 s21, 0
	s_mov_b64 s[20:21], 0
	s_subb_u32 s18, s9, 0
	s_cmp_gt_u32 s8, 11
	s_cselect_b32 s8, -1, 0
	s_cmp_eq_u32 s18, 0
	v_readfirstlane_b32 s18, v1
	s_cselect_b32 s8, s8, -1
	s_delay_alu instid0(SALU_CYCLE_1)
	s_cmp_lg_u32 s8, 0
	s_cselect_b32 s8, s22, s17
	s_cselect_b32 s19, s23, s19
	s_cmp_gt_u32 s18, 11
	s_cselect_b32 s17, -1, 0
	s_cmp_eq_u32 s9, 0
	s_cselect_b32 s9, s17, -1
	s_mov_b32 s17, 0
	s_cmp_lg_u32 s9, 0
	s_cselect_b32 s8, s8, s10
	s_cselect_b32 s9, s19, s11
	s_add_u32 s18, s8, 1
	s_addc_u32 s19, s9, 0
	s_delay_alu instid0(SALU_CYCLE_1) | instskip(NEXT) | instid1(VALU_DEP_1)
	v_cmp_lt_u64_e64 s8, s[16:17], s[18:19]
	s_and_b32 vcc_lo, exec_lo, s8
	s_cbranch_vccnz .LBB0_5
; %bb.4:
	v_cvt_f32_u32_e32 v1, s18
	s_sub_i32 s9, 0, s18
	s_mov_b32 s21, s17
	s_delay_alu instid0(VALU_DEP_1) | instskip(SKIP_2) | instid1(VALU_DEP_1)
	v_rcp_iflag_f32_e32 v1, v1
	s_waitcnt_depctr 0xfff
	v_mul_f32_e32 v1, 0x4f7ffffe, v1
	v_cvt_u32_f32_e32 v1, v1
	s_delay_alu instid0(VALU_DEP_1) | instskip(NEXT) | instid1(VALU_DEP_1)
	v_readfirstlane_b32 s8, v1
	s_mul_i32 s9, s9, s8
	s_delay_alu instid0(SALU_CYCLE_1) | instskip(NEXT) | instid1(SALU_CYCLE_1)
	s_mul_hi_u32 s9, s8, s9
	s_add_i32 s8, s8, s9
	s_delay_alu instid0(SALU_CYCLE_1) | instskip(NEXT) | instid1(SALU_CYCLE_1)
	s_mul_hi_u32 s8, s16, s8
	s_mul_i32 s9, s8, s18
	s_add_i32 s10, s8, 1
	s_sub_i32 s9, s16, s9
	s_delay_alu instid0(SALU_CYCLE_1)
	s_sub_i32 s11, s9, s18
	s_cmp_ge_u32 s9, s18
	s_cselect_b32 s8, s10, s8
	s_cselect_b32 s9, s11, s9
	s_add_i32 s10, s8, 1
	s_cmp_ge_u32 s9, s18
	s_cselect_b32 s20, s10, s8
.LBB0_5:
	s_load_b128 s[8:11], s[6:7], 0x0
	s_waitcnt lgkmcnt(0)
	s_mul_i32 s9, s20, s19
	s_mul_hi_u32 s22, s20, s18
	s_mul_i32 s23, s20, s18
	s_add_i32 s22, s22, s9
	s_sub_u32 s34, s16, s23
	s_subb_u32 s9, 0, s22
	s_mul_hi_u32 s33, s34, 12
	s_mul_i32 s9, s9, 12
	v_cmp_lt_u64_e64 s24, s[2:3], 3
	s_mul_i32 s34, s34, 12
	s_add_i32 s33, s33, s9
	s_delay_alu instid0(VALU_DEP_1)
	s_and_b32 vcc_lo, exec_lo, s24
	s_mul_i32 s9, s10, s33
	s_mul_hi_u32 s22, s10, s34
	s_mul_i32 s23, s11, s34
	s_add_i32 s22, s22, s9
	s_mul_i32 s9, s10, s34
	s_add_i32 s35, s22, s23
	s_cbranch_vccnz .LBB0_15
; %bb.6:
	s_add_u32 s22, s6, 16
	s_addc_u32 s23, s7, 0
	s_add_u32 s4, s4, 16
	s_addc_u32 s5, s5, 0
	s_mov_b64 s[24:25], 2
	s_mov_b32 s26, 0
.LBB0_7:                                ; =>This Inner Loop Header: Depth=1
	s_load_b64 s[28:29], s[4:5], 0x0
	s_waitcnt lgkmcnt(0)
	s_or_b64 s[30:31], s[20:21], s[28:29]
	s_delay_alu instid0(SALU_CYCLE_1) | instskip(NEXT) | instid1(SALU_CYCLE_1)
	s_mov_b32 s27, s31
                                        ; implicit-def: $sgpr30_sgpr31
	s_cmp_lg_u64 s[26:27], 0
	s_mov_b32 s27, -1
	s_cbranch_scc0 .LBB0_9
; %bb.8:                                ;   in Loop: Header=BB0_7 Depth=1
	v_cvt_f32_u32_e32 v1, s28
	v_cvt_f32_u32_e32 v2, s29
	s_sub_u32 s31, 0, s28
	s_subb_u32 s36, 0, s29
	s_delay_alu instid0(VALU_DEP_1) | instskip(NEXT) | instid1(VALU_DEP_1)
	v_fmac_f32_e32 v1, 0x4f800000, v2
	v_rcp_f32_e32 v1, v1
	s_waitcnt_depctr 0xfff
	v_mul_f32_e32 v1, 0x5f7ffffc, v1
	s_delay_alu instid0(VALU_DEP_1) | instskip(NEXT) | instid1(VALU_DEP_1)
	v_mul_f32_e32 v2, 0x2f800000, v1
	v_trunc_f32_e32 v2, v2
	s_delay_alu instid0(VALU_DEP_1) | instskip(SKIP_1) | instid1(VALU_DEP_2)
	v_fmac_f32_e32 v1, 0xcf800000, v2
	v_cvt_u32_f32_e32 v2, v2
	v_cvt_u32_f32_e32 v1, v1
	s_delay_alu instid0(VALU_DEP_2) | instskip(NEXT) | instid1(VALU_DEP_2)
	v_readfirstlane_b32 s27, v2
	v_readfirstlane_b32 s30, v1
	s_delay_alu instid0(VALU_DEP_2) | instskip(NEXT) | instid1(VALU_DEP_1)
	s_mul_i32 s37, s31, s27
	s_mul_hi_u32 s39, s31, s30
	s_mul_i32 s38, s36, s30
	s_add_i32 s37, s39, s37
	s_mul_i32 s40, s31, s30
	s_add_i32 s37, s37, s38
	s_mul_hi_u32 s39, s30, s40
	s_mul_hi_u32 s41, s27, s40
	s_mul_i32 s38, s27, s40
	s_mul_hi_u32 s40, s30, s37
	s_mul_i32 s30, s30, s37
	s_mul_hi_u32 s42, s27, s37
	s_add_u32 s30, s39, s30
	s_addc_u32 s39, 0, s40
	s_add_u32 s30, s30, s38
	s_mul_i32 s37, s27, s37
	s_addc_u32 s30, s39, s41
	s_addc_u32 s38, s42, 0
	s_add_u32 s30, s30, s37
	s_addc_u32 s37, 0, s38
	v_add_co_u32 v1, s30, v1, s30
	s_delay_alu instid0(VALU_DEP_1) | instskip(SKIP_1) | instid1(VALU_DEP_1)
	s_cmp_lg_u32 s30, 0
	s_addc_u32 s27, s27, s37
	v_readfirstlane_b32 s30, v1
	s_mul_i32 s37, s31, s27
	s_delay_alu instid0(VALU_DEP_1)
	s_mul_hi_u32 s38, s31, s30
	s_mul_i32 s36, s36, s30
	s_add_i32 s37, s38, s37
	s_mul_i32 s31, s31, s30
	s_add_i32 s37, s37, s36
	s_mul_hi_u32 s38, s27, s31
	s_mul_i32 s39, s27, s31
	s_mul_hi_u32 s31, s30, s31
	s_mul_hi_u32 s40, s30, s37
	s_mul_i32 s30, s30, s37
	s_mul_hi_u32 s36, s27, s37
	s_add_u32 s30, s31, s30
	s_addc_u32 s31, 0, s40
	s_add_u32 s30, s30, s39
	s_mul_i32 s37, s27, s37
	s_addc_u32 s30, s31, s38
	s_addc_u32 s31, s36, 0
	s_add_u32 s30, s30, s37
	s_addc_u32 s31, 0, s31
	v_add_co_u32 v1, s30, v1, s30
	s_delay_alu instid0(VALU_DEP_1) | instskip(SKIP_1) | instid1(VALU_DEP_1)
	s_cmp_lg_u32 s30, 0
	s_addc_u32 s27, s27, s31
	v_readfirstlane_b32 s30, v1
	s_mul_i32 s36, s20, s27
	s_mul_hi_u32 s31, s20, s27
	s_mul_hi_u32 s37, s21, s27
	s_mul_i32 s27, s21, s27
	s_mul_hi_u32 s38, s20, s30
	s_mul_hi_u32 s39, s21, s30
	s_mul_i32 s30, s21, s30
	s_add_u32 s36, s38, s36
	s_addc_u32 s31, 0, s31
	s_add_u32 s30, s36, s30
	s_addc_u32 s30, s31, s39
	s_addc_u32 s31, s37, 0
	s_add_u32 s30, s30, s27
	s_addc_u32 s31, 0, s31
	s_mul_hi_u32 s27, s28, s30
	s_mul_i32 s37, s28, s31
	s_mul_i32 s38, s28, s30
	s_add_i32 s27, s27, s37
	v_sub_co_u32 v1, s37, s20, s38
	s_mul_i32 s36, s29, s30
	s_delay_alu instid0(SALU_CYCLE_1) | instskip(NEXT) | instid1(VALU_DEP_1)
	s_add_i32 s27, s27, s36
	v_sub_co_u32 v2, s38, v1, s28
	s_sub_i32 s36, s21, s27
	s_cmp_lg_u32 s37, 0
	s_subb_u32 s36, s36, s29
	s_cmp_lg_u32 s38, 0
	v_readfirstlane_b32 s38, v2
	s_subb_u32 s36, s36, 0
	s_delay_alu instid0(SALU_CYCLE_1) | instskip(SKIP_1) | instid1(VALU_DEP_1)
	s_cmp_ge_u32 s36, s29
	s_cselect_b32 s39, -1, 0
	s_cmp_ge_u32 s38, s28
	s_cselect_b32 s38, -1, 0
	s_cmp_eq_u32 s36, s29
	s_cselect_b32 s36, s38, s39
	s_add_u32 s38, s30, 1
	s_addc_u32 s39, s31, 0
	s_add_u32 s40, s30, 2
	s_addc_u32 s41, s31, 0
	s_cmp_lg_u32 s36, 0
	s_cselect_b32 s36, s40, s38
	s_cselect_b32 s38, s41, s39
	s_cmp_lg_u32 s37, 0
	v_readfirstlane_b32 s37, v1
	s_subb_u32 s27, s21, s27
	s_delay_alu instid0(SALU_CYCLE_1) | instskip(SKIP_1) | instid1(VALU_DEP_1)
	s_cmp_ge_u32 s27, s29
	s_cselect_b32 s39, -1, 0
	s_cmp_ge_u32 s37, s28
	s_cselect_b32 s37, -1, 0
	s_cmp_eq_u32 s27, s29
	s_cselect_b32 s27, s37, s39
	s_delay_alu instid0(SALU_CYCLE_1)
	s_cmp_lg_u32 s27, 0
	s_mov_b32 s27, 0
	s_cselect_b32 s31, s38, s31
	s_cselect_b32 s30, s36, s30
.LBB0_9:                                ;   in Loop: Header=BB0_7 Depth=1
	s_and_not1_b32 vcc_lo, exec_lo, s27
	s_cbranch_vccnz .LBB0_11
; %bb.10:                               ;   in Loop: Header=BB0_7 Depth=1
	v_cvt_f32_u32_e32 v1, s28
	s_sub_i32 s30, 0, s28
	s_waitcnt_depctr 0xfff
	v_rcp_iflag_f32_e32 v1, v1
	s_waitcnt_depctr 0xfff
	v_mul_f32_e32 v1, 0x4f7ffffe, v1
	s_delay_alu instid0(VALU_DEP_1) | instskip(NEXT) | instid1(VALU_DEP_1)
	v_cvt_u32_f32_e32 v1, v1
	v_readfirstlane_b32 s27, v1
	s_delay_alu instid0(VALU_DEP_1) | instskip(NEXT) | instid1(SALU_CYCLE_1)
	s_mul_i32 s30, s30, s27
	s_mul_hi_u32 s30, s27, s30
	s_delay_alu instid0(SALU_CYCLE_1) | instskip(NEXT) | instid1(SALU_CYCLE_1)
	s_add_i32 s27, s27, s30
	s_mul_hi_u32 s27, s20, s27
	s_delay_alu instid0(SALU_CYCLE_1) | instskip(SKIP_2) | instid1(SALU_CYCLE_1)
	s_mul_i32 s30, s27, s28
	s_add_i32 s31, s27, 1
	s_sub_i32 s30, s20, s30
	s_sub_i32 s36, s30, s28
	s_cmp_ge_u32 s30, s28
	s_cselect_b32 s27, s31, s27
	s_cselect_b32 s30, s36, s30
	s_add_i32 s31, s27, 1
	s_cmp_ge_u32 s30, s28
	s_cselect_b32 s30, s31, s27
	s_mov_b32 s31, s26
.LBB0_11:                               ;   in Loop: Header=BB0_7 Depth=1
	s_load_b64 s[36:37], s[22:23], 0x0
	s_mul_i32 s19, s28, s19
	s_mul_hi_u32 s27, s28, s18
	s_mul_i32 s38, s29, s18
	s_mul_i32 s29, s30, s29
	s_mul_hi_u32 s39, s30, s28
	s_mul_i32 s40, s31, s28
	s_add_i32 s19, s27, s19
	s_add_i32 s27, s39, s29
	s_mul_i32 s41, s30, s28
	s_add_i32 s19, s19, s38
	s_add_i32 s27, s27, s40
	s_sub_u32 s20, s20, s41
	s_subb_u32 s21, s21, s27
	s_mul_i32 s18, s28, s18
	s_waitcnt lgkmcnt(0)
	s_mul_i32 s21, s36, s21
	s_mul_hi_u32 s27, s36, s20
	s_delay_alu instid0(SALU_CYCLE_1)
	s_add_i32 s21, s27, s21
	s_mul_i32 s27, s37, s20
	s_mul_i32 s20, s36, s20
	s_add_i32 s21, s21, s27
	s_add_u32 s9, s20, s9
	s_addc_u32 s35, s21, s35
	s_add_u32 s24, s24, 1
	s_addc_u32 s25, s25, 0
	s_add_u32 s22, s22, 8
	v_cmp_ge_u64_e64 s20, s[24:25], s[2:3]
	s_addc_u32 s23, s23, 0
	s_add_u32 s4, s4, 8
	s_addc_u32 s5, s5, 0
	s_delay_alu instid0(VALU_DEP_1)
	s_and_b32 vcc_lo, exec_lo, s20
	s_cbranch_vccnz .LBB0_13
; %bb.12:                               ;   in Loop: Header=BB0_7 Depth=1
	s_mov_b64 s[20:21], s[30:31]
	s_branch .LBB0_7
.LBB0_13:
	v_cmp_lt_u64_e64 s4, s[16:17], s[18:19]
	s_mov_b64 s[20:21], 0
	s_delay_alu instid0(VALU_DEP_1)
	s_and_b32 vcc_lo, exec_lo, s4
	s_cbranch_vccnz .LBB0_15
; %bb.14:
	v_cvt_f32_u32_e32 v1, s18
	s_sub_i32 s5, 0, s18
	s_delay_alu instid0(VALU_DEP_1) | instskip(SKIP_2) | instid1(VALU_DEP_1)
	v_rcp_iflag_f32_e32 v1, v1
	s_waitcnt_depctr 0xfff
	v_mul_f32_e32 v1, 0x4f7ffffe, v1
	v_cvt_u32_f32_e32 v1, v1
	s_delay_alu instid0(VALU_DEP_1) | instskip(NEXT) | instid1(VALU_DEP_1)
	v_readfirstlane_b32 s4, v1
	s_mul_i32 s5, s5, s4
	s_delay_alu instid0(SALU_CYCLE_1) | instskip(NEXT) | instid1(SALU_CYCLE_1)
	s_mul_hi_u32 s5, s4, s5
	s_add_i32 s4, s4, s5
	s_delay_alu instid0(SALU_CYCLE_1) | instskip(NEXT) | instid1(SALU_CYCLE_1)
	s_mul_hi_u32 s4, s16, s4
	s_mul_i32 s5, s4, s18
	s_delay_alu instid0(SALU_CYCLE_1)
	s_sub_i32 s5, s16, s5
	s_add_i32 s16, s4, 1
	s_sub_i32 s17, s5, s18
	s_cmp_ge_u32 s5, s18
	s_cselect_b32 s4, s16, s4
	s_cselect_b32 s5, s17, s5
	s_add_i32 s16, s4, 1
	s_cmp_ge_u32 s5, s18
	s_cselect_b32 s20, s16, s4
.LBB0_15:
	s_lshl_b64 s[2:3], s[2:3], 3
	v_mul_hi_u32 v72, 0x15555556, v0
	s_add_u32 s2, s6, s2
	s_addc_u32 s3, s7, s3
	v_mov_b32_e32 v51, 0
	s_load_b64 s[2:3], s[2:3], 0x0
	v_dual_mov_b32 v52, 0 :: v_dual_mov_b32 v5, 0
	s_delay_alu instid0(VALU_DEP_3) | instskip(NEXT) | instid1(VALU_DEP_1)
	v_mul_u32_u24_e32 v1, 12, v72
	v_sub_nc_u32_e32 v73, v0, v1
	s_delay_alu instid0(VALU_DEP_1) | instskip(SKIP_2) | instid1(VALU_DEP_1)
	v_mad_u64_u32 v[53:54], null, s10, v73, 0
	s_waitcnt lgkmcnt(0)
	v_add_co_u32 v55, s3, s34, v73
	v_add_co_ci_u32_e64 v56, null, s33, 0, s3
	s_mul_i32 s2, s2, s20
	s_delay_alu instid0(VALU_DEP_3)
	v_mov_b32_e32 v1, v54
	s_add_u32 s9, s2, s9
	s_add_u32 s2, s34, 12
	s_addc_u32 s3, s33, 0
	v_cmp_gt_u64_e32 vcc_lo, s[0:1], v[55:56]
	v_cmp_le_u64_e64 s2, s[2:3], s[0:1]
	v_mad_u64_u32 v[2:3], null, s11, v73, v[1:2]
	v_mov_b32_e32 v3, v51
	v_dual_mov_b32 v1, v51 :: v_dual_mov_b32 v2, v52
	v_mov_b32_e32 v4, v52
	s_or_b32 s33, s2, vcc_lo
	s_delay_alu instid0(SALU_CYCLE_1)
	s_and_saveexec_b32 s0, s33
	s_cbranch_execz .LBB0_17
; %bb.16:
	v_mul_lo_u32 v1, s8, v72
	s_delay_alu instid0(VALU_DEP_1) | instskip(NEXT) | instid1(VALU_DEP_1)
	v_add3_u32 v4, s9, v53, v1
	v_lshlrev_b64 v[1:2], 4, v[4:5]
	s_delay_alu instid0(VALU_DEP_1) | instskip(NEXT) | instid1(VALU_DEP_2)
	v_add_co_u32 v1, vcc_lo, s12, v1
	v_add_co_ci_u32_e32 v2, vcc_lo, s13, v2, vcc_lo
	global_load_b128 v[1:4], v[1:2], off
.LBB0_17:
	s_or_b32 exec_lo, exec_lo, s0
	v_dual_mov_b32 v49, v51 :: v_dual_mov_b32 v50, v52
	s_and_saveexec_b32 s0, s33
	s_cbranch_execz .LBB0_19
; %bb.18:
	v_dual_mov_b32 v6, 0 :: v_dual_add_nc_u32 v5, 13, v72
	s_delay_alu instid0(VALU_DEP_1) | instskip(NEXT) | instid1(VALU_DEP_1)
	v_mul_lo_u32 v5, s8, v5
	v_add3_u32 v5, s9, v53, v5
	s_delay_alu instid0(VALU_DEP_1) | instskip(NEXT) | instid1(VALU_DEP_1)
	v_lshlrev_b64 v[5:6], 4, v[5:6]
	v_add_co_u32 v5, vcc_lo, s12, v5
	s_delay_alu instid0(VALU_DEP_2)
	v_add_co_ci_u32_e32 v6, vcc_lo, s13, v6, vcc_lo
	global_load_b128 v[49:52], v[5:6], off
.LBB0_19:
	s_or_b32 exec_lo, exec_lo, s0
	v_mov_b32_e32 v43, 0
	v_mov_b32_e32 v44, 0
	s_delay_alu instid0(VALU_DEP_1)
	v_dual_mov_b32 v48, v44 :: v_dual_mov_b32 v47, v43
	v_dual_mov_b32 v46, v44 :: v_dual_mov_b32 v45, v43
	s_and_saveexec_b32 s0, s33
	s_cbranch_execz .LBB0_21
; %bb.20:
	v_dual_mov_b32 v6, 0 :: v_dual_add_nc_u32 v5, 26, v72
	s_delay_alu instid0(VALU_DEP_1) | instskip(NEXT) | instid1(VALU_DEP_1)
	v_mul_lo_u32 v5, s8, v5
	v_add3_u32 v5, s9, v53, v5
	s_delay_alu instid0(VALU_DEP_1) | instskip(NEXT) | instid1(VALU_DEP_1)
	v_lshlrev_b64 v[5:6], 4, v[5:6]
	v_add_co_u32 v5, vcc_lo, s12, v5
	s_delay_alu instid0(VALU_DEP_2)
	v_add_co_ci_u32_e32 v6, vcc_lo, s13, v6, vcc_lo
	global_load_b128 v[45:48], v[5:6], off
.LBB0_21:
	s_or_b32 exec_lo, exec_lo, s0
	v_dual_mov_b32 v41, v43 :: v_dual_mov_b32 v42, v44
	s_and_saveexec_b32 s0, s33
	s_cbranch_execz .LBB0_23
; %bb.22:
	v_dual_mov_b32 v6, 0 :: v_dual_add_nc_u32 v5, 39, v72
	s_delay_alu instid0(VALU_DEP_1) | instskip(NEXT) | instid1(VALU_DEP_1)
	v_mul_lo_u32 v5, s8, v5
	v_add3_u32 v5, s9, v53, v5
	s_delay_alu instid0(VALU_DEP_1) | instskip(NEXT) | instid1(VALU_DEP_1)
	v_lshlrev_b64 v[5:6], 4, v[5:6]
	v_add_co_u32 v5, vcc_lo, s12, v5
	s_delay_alu instid0(VALU_DEP_2)
	v_add_co_ci_u32_e32 v6, vcc_lo, s13, v6, vcc_lo
	global_load_b128 v[41:44], v[5:6], off
.LBB0_23:
	s_or_b32 exec_lo, exec_lo, s0
	v_mov_b32_e32 v35, 0
	v_mov_b32_e32 v36, 0
	s_delay_alu instid0(VALU_DEP_1)
	v_dual_mov_b32 v40, v36 :: v_dual_mov_b32 v39, v35
	v_dual_mov_b32 v38, v36 :: v_dual_mov_b32 v37, v35
	s_and_saveexec_b32 s0, s33
	s_cbranch_execz .LBB0_25
; %bb.24:
	v_dual_mov_b32 v6, 0 :: v_dual_add_nc_u32 v5, 52, v72
	s_delay_alu instid0(VALU_DEP_1) | instskip(NEXT) | instid1(VALU_DEP_1)
	v_mul_lo_u32 v5, s8, v5
	v_add3_u32 v5, s9, v53, v5
	s_delay_alu instid0(VALU_DEP_1) | instskip(NEXT) | instid1(VALU_DEP_1)
	v_lshlrev_b64 v[5:6], 4, v[5:6]
	v_add_co_u32 v5, vcc_lo, s12, v5
	s_delay_alu instid0(VALU_DEP_2)
	v_add_co_ci_u32_e32 v6, vcc_lo, s13, v6, vcc_lo
	global_load_b128 v[37:40], v[5:6], off
.LBB0_25:
	;; [unrolled: 36-line block ×5, first 2 shown]
	s_or_b32 exec_lo, exec_lo, s0
	v_dual_mov_b32 v5, v7 :: v_dual_mov_b32 v6, v8
	s_and_saveexec_b32 s0, s33
	s_cbranch_execz .LBB0_39
; %bb.38:
	v_dual_mov_b32 v6, 0 :: v_dual_add_nc_u32 v5, 0x8f, v72
	s_delay_alu instid0(VALU_DEP_1) | instskip(NEXT) | instid1(VALU_DEP_1)
	v_mul_lo_u32 v5, s8, v5
	v_add3_u32 v5, s9, v53, v5
	s_delay_alu instid0(VALU_DEP_1) | instskip(NEXT) | instid1(VALU_DEP_1)
	v_lshlrev_b64 v[5:6], 4, v[5:6]
	v_add_co_u32 v5, vcc_lo, s12, v5
	s_delay_alu instid0(VALU_DEP_2)
	v_add_co_ci_u32_e32 v6, vcc_lo, s13, v6, vcc_lo
	global_load_b128 v[5:8], v[5:6], off
.LBB0_39:
	s_or_b32 exec_lo, exec_lo, s0
	v_mov_b32_e32 v15, 0
	v_mov_b32_e32 v16, 0
	s_delay_alu instid0(VALU_DEP_1)
	v_dual_mov_b32 v13, v15 :: v_dual_mov_b32 v14, v16
	s_and_saveexec_b32 s0, s33
	s_cbranch_execz .LBB0_41
; %bb.40:
	v_dual_mov_b32 v14, 0 :: v_dual_add_nc_u32 v13, 0x9c, v72
	s_delay_alu instid0(VALU_DEP_1) | instskip(NEXT) | instid1(VALU_DEP_1)
	v_mul_lo_u32 v13, s8, v13
	v_add3_u32 v13, s9, v53, v13
	s_delay_alu instid0(VALU_DEP_1) | instskip(NEXT) | instid1(VALU_DEP_1)
	v_lshlrev_b64 v[13:14], 4, v[13:14]
	v_add_co_u32 v13, vcc_lo, s12, v13
	s_delay_alu instid0(VALU_DEP_2)
	v_add_co_ci_u32_e32 v14, vcc_lo, s13, v14, vcc_lo
	global_load_b128 v[13:16], v[13:14], off
.LBB0_41:
	s_or_b32 exec_lo, exec_lo, s0
	s_waitcnt vmcnt(0)
	v_add_f64 v[56:57], v[1:2], v[49:50]
	v_add_f64 v[58:59], v[3:4], v[51:52]
	;; [unrolled: 1-line block ×3, first 2 shown]
	v_add_f64 v[66:67], v[49:50], -v[13:14]
	s_mov_b32 s0, 0xe00740e9
	s_mov_b32 s2, 0x1ea71119
	;; [unrolled: 1-line block ×22, first 2 shown]
	v_add_f64 v[49:50], v[51:52], v[15:16]
	v_add_f64 v[51:52], v[51:52], -v[15:16]
	s_mov_b32 s37, 0x3fddbe06
	s_mov_b32 s5, 0xbfddbe06
	;; [unrolled: 1-line block ×5, first 2 shown]
	v_add_f64 v[74:75], v[45:46], v[5:6]
	v_add_f64 v[76:77], v[45:46], -v[5:6]
	s_mov_b32 s4, s36
	s_mov_b32 s40, s20
	;; [unrolled: 1-line block ×3, first 2 shown]
	v_add_f64 v[60:61], v[56:57], v[45:46]
	v_add_f64 v[58:59], v[58:59], v[47:48]
	v_mul_f64 v[98:99], v[62:63], s[0:1]
	v_mul_f64 v[102:103], v[62:63], s[2:3]
	;; [unrolled: 1-line block ×7, first 2 shown]
	s_mov_b32 s27, 0xbfe5384d
	s_mov_b32 s42, 0x4bc48dbf
	v_add_f64 v[86:87], v[33:34], v[25:26]
	v_add_f64 v[88:89], v[33:34], -v[25:26]
	v_add_f64 v[45:46], v[35:36], v[27:28]
	s_mov_b32 s26, s38
	v_mul_f64 v[114:115], v[66:67], s[30:31]
	s_mov_b32 s43, 0x3fcea1e5
	s_mov_b32 s35, 0xbfcea1e5
	;; [unrolled: 1-line block ×3, first 2 shown]
	v_mul_f64 v[100:101], v[66:67], s[4:5]
	v_mul_f64 v[116:117], v[66:67], s[40:41]
	;; [unrolled: 1-line block ×4, first 2 shown]
	v_add_f64 v[56:57], v[47:48], v[7:8]
	v_add_f64 v[47:48], v[47:48], -v[7:8]
	v_add_f64 v[78:79], v[41:42], v[17:18]
	v_add_f64 v[80:81], v[41:42], -v[17:18]
	;; [unrolled: 2-line block ×5, first 2 shown]
	v_mul_f64 v[140:141], v[74:75], s[18:19]
	v_mul_f64 v[142:143], v[76:77], s[40:41]
	;; [unrolled: 1-line block ×5, first 2 shown]
	v_add_f64 v[68:69], v[60:61], v[41:42]
	v_add_f64 v[70:71], v[58:59], v[43:44]
	v_add_f64 v[58:59], v[35:36], -v[27:28]
	v_fma_f64 v[200:201], v[51:52], s[36:37], v[98:99]
	v_fma_f64 v[98:99], v[51:52], s[4:5], v[98:99]
	;; [unrolled: 1-line block ×13, first 2 shown]
	v_add_f64 v[41:42], v[31:32], v[23:24]
	v_add_f64 v[43:44], v[31:32], -v[23:24]
	v_fma_f64 v[214:215], v[49:50], s[10:11], v[114:115]
	v_mul_f64 v[124:125], v[76:77], s[6:7]
	v_mul_f64 v[174:175], v[74:75], s[24:25]
	;; [unrolled: 1-line block ×5, first 2 shown]
	v_fma_f64 v[202:203], v[49:50], s[0:1], v[100:101]
	v_fma_f64 v[112:113], v[49:50], s[2:3], -v[112:113]
	v_fma_f64 v[216:217], v[49:50], s[18:19], v[116:117]
	v_fma_f64 v[116:117], v[49:50], s[18:19], -v[116:117]
	v_mul_f64 v[180:181], v[76:77], s[16:17]
	v_fma_f64 v[218:219], v[49:50], s[24:25], v[118:119]
	v_fma_f64 v[118:119], v[49:50], s[24:25], -v[118:119]
	v_mul_f64 v[76:77], v[76:77], s[36:37]
	v_fma_f64 v[220:221], v[49:50], s[28:29], v[120:121]
	v_fma_f64 v[100:101], v[49:50], s[0:1], -v[100:101]
	v_fma_f64 v[114:115], v[49:50], s[10:11], -v[114:115]
	;; [unrolled: 1-line block ×3, first 2 shown]
	v_mul_f64 v[144:145], v[78:79], s[28:29]
	v_mul_f64 v[146:147], v[80:81], s[34:35]
	v_add_f64 v[134:135], v[68:69], v[37:38]
	v_add_f64 v[136:137], v[70:71], v[39:40]
	v_fma_f64 v[226:227], v[47:48], s[20:21], v[140:141]
	v_fma_f64 v[228:229], v[56:57], s[18:19], v[142:143]
	v_mul_f64 v[160:161], v[78:79], s[18:19]
	v_add_f64 v[204:205], v[1:2], v[204:205]
	v_mul_f64 v[162:163], v[80:81], s[20:21]
	v_fma_f64 v[236:237], v[47:48], s[42:43], v[156:157]
	v_fma_f64 v[238:239], v[56:57], s[28:29], v[158:159]
	v_add_f64 v[206:207], v[1:2], v[206:207]
	v_mul_f64 v[126:127], v[78:79], s[10:11]
	v_mul_f64 v[128:129], v[80:81], s[30:31]
	;; [unrolled: 1-line block ×5, first 2 shown]
	v_add_f64 v[110:111], v[3:4], v[110:111]
	v_mul_f64 v[186:187], v[80:81], s[36:37]
	v_fma_f64 v[120:121], v[47:48], s[22:23], v[122:123]
	v_add_f64 v[214:215], v[3:4], v[214:215]
	v_fma_f64 v[222:223], v[56:57], s[2:3], v[124:125]
	v_fma_f64 v[122:123], v[47:48], s[6:7], v[122:123]
	;; [unrolled: 1-line block ×10, first 2 shown]
	v_fma_f64 v[74:75], v[56:57], s[2:3], -v[124:125]
	v_fma_f64 v[124:125], v[56:57], s[18:19], -v[142:143]
	;; [unrolled: 1-line block ×3, first 2 shown]
	v_fma_f64 v[158:159], v[56:57], s[24:25], v[178:179]
	v_fma_f64 v[178:179], v[56:57], s[24:25], -v[178:179]
	v_add_f64 v[202:203], v[3:4], v[202:203]
	v_add_f64 v[98:99], v[1:2], v[98:99]
	;; [unrolled: 1-line block ×12, first 2 shown]
	v_mul_f64 v[188:189], v[80:81], s[6:7]
	v_fma_f64 v[252:253], v[56:57], s[10:11], v[180:181]
	v_fma_f64 v[180:181], v[56:57], s[10:11], -v[180:181]
	v_add_f64 v[200:201], v[1:2], v[200:201]
	v_add_f64 v[218:219], v[3:4], v[218:219]
	;; [unrolled: 1-line block ×4, first 2 shown]
	v_mul_f64 v[80:81], v[80:81], s[26:27]
	v_fma_f64 v[254:255], v[56:57], s[0:1], v[76:77]
	v_add_f64 v[108:109], v[1:2], v[108:109]
	v_add_f64 v[220:221], v[3:4], v[220:221]
	v_fma_f64 v[56:57], v[56:57], s[0:1], -v[76:77]
	v_add_f64 v[100:101], v[3:4], v[100:101]
	v_add_f64 v[114:115], v[3:4], v[114:115]
	v_add_f64 v[1:2], v[1:2], v[51:52]
	v_add_f64 v[3:4], v[3:4], v[49:50]
	v_add_f64 v[60:61], v[39:40], v[11:12]
	v_add_f64 v[96:97], v[39:40], -v[11:12]
	v_mul_f64 v[148:149], v[82:83], s[24:25]
	v_mul_f64 v[150:151], v[84:85], s[38:39]
	v_fma_f64 v[230:231], v[94:95], s[42:43], v[144:145]
	v_fma_f64 v[232:233], v[92:93], s[28:29], v[146:147]
	v_add_f64 v[204:205], v[226:227], v[204:205]
	v_add_f64 v[110:111], v[228:229], v[110:111]
	v_mul_f64 v[164:165], v[82:83], s[0:1]
	v_mul_f64 v[166:167], v[84:85], s[36:37]
	v_fma_f64 v[240:241], v[94:95], s[40:41], v[160:161]
	v_fma_f64 v[242:243], v[92:93], s[18:19], v[162:163]
	v_add_f64 v[206:207], v[236:237], v[206:207]
	v_add_f64 v[214:215], v[238:239], v[214:215]
	;; [unrolled: 1-line block ×4, first 2 shown]
	v_mul_f64 v[130:131], v[82:83], s[18:19]
	v_mul_f64 v[132:133], v[84:85], s[40:41]
	;; [unrolled: 1-line block ×5, first 2 shown]
	v_fma_f64 v[33:34], v[94:95], s[16:17], v[126:127]
	v_fma_f64 v[35:36], v[92:93], s[10:11], v[128:129]
	;; [unrolled: 1-line block ×7, first 2 shown]
	v_add_f64 v[202:203], v[222:223], v[202:203]
	v_add_f64 v[98:99], v[122:123], v[98:99]
	;; [unrolled: 1-line block ×10, first 2 shown]
	v_mul_f64 v[82:83], v[82:83], s[2:3]
	v_mul_f64 v[192:193], v[84:85], s[42:43]
	v_fma_f64 v[49:50], v[92:93], s[2:3], v[188:189]
	v_fma_f64 v[51:52], v[92:93], s[2:3], -v[188:189]
	v_add_f64 v[120:121], v[120:121], v[200:201]
	v_add_f64 v[218:219], v[252:253], v[218:219]
	;; [unrolled: 1-line block ×4, first 2 shown]
	v_mul_f64 v[84:85], v[84:85], s[22:23]
	v_fma_f64 v[188:189], v[92:93], s[24:25], v[80:81]
	v_add_f64 v[108:109], v[176:177], v[108:109]
	v_add_f64 v[220:221], v[254:255], v[220:221]
	v_fma_f64 v[80:81], v[92:93], s[24:25], -v[80:81]
	v_add_f64 v[1:2], v[47:48], v[1:2]
	v_add_f64 v[21:22], v[29:30], v[21:22]
	;; [unrolled: 1-line block ×3, first 2 shown]
	v_fma_f64 v[29:30], v[94:95], s[22:23], v[184:185]
	v_fma_f64 v[31:32], v[94:95], s[6:7], v[184:185]
	;; [unrolled: 1-line block ×4, first 2 shown]
	v_fma_f64 v[94:95], v[92:93], s[10:11], -v[128:129]
	v_fma_f64 v[128:129], v[92:93], s[28:29], -v[146:147]
	;; [unrolled: 1-line block ×3, first 2 shown]
	v_fma_f64 v[162:163], v[92:93], s[0:1], v[186:187]
	v_fma_f64 v[186:187], v[92:93], s[0:1], -v[186:187]
	v_add_f64 v[3:4], v[56:57], v[3:4]
	v_add_f64 v[56:57], v[142:143], v[114:115]
	;; [unrolled: 1-line block ×3, first 2 shown]
	v_mul_f64 v[152:153], v[86:87], s[10:11]
	v_mul_f64 v[154:155], v[88:89], s[16:17]
	v_fma_f64 v[234:235], v[96:97], s[26:27], v[148:149]
	v_fma_f64 v[156:157], v[60:61], s[24:25], v[150:151]
	v_add_f64 v[74:75], v[230:231], v[204:205]
	v_add_f64 v[100:101], v[232:233], v[110:111]
	v_mul_f64 v[168:169], v[86:87], s[2:3]
	v_mul_f64 v[170:171], v[88:89], s[6:7]
	v_fma_f64 v[244:245], v[96:97], s[4:5], v[164:165]
	v_fma_f64 v[248:249], v[60:61], s[0:1], v[166:167]
	v_add_f64 v[110:111], v[240:241], v[206:207]
	v_add_f64 v[114:115], v[242:243], v[214:215]
	v_mul_f64 v[138:139], v[86:87], s[24:25]
	v_mul_f64 v[66:67], v[88:89], s[26:27]
	;; [unrolled: 1-line block ×6, first 2 shown]
	v_fma_f64 v[224:225], v[96:97], s[20:21], v[130:131]
	v_fma_f64 v[92:93], v[96:97], s[40:41], v[130:131]
	;; [unrolled: 1-line block ×6, first 2 shown]
	v_add_f64 v[21:22], v[21:22], v[25:26]
	v_add_f64 v[23:24], v[23:24], v[27:28]
	v_fma_f64 v[25:26], v[96:97], s[34:35], v[136:137]
	v_fma_f64 v[236:237], v[60:61], s[18:19], v[132:133]
	v_fma_f64 v[150:151], v[60:61], s[24:25], -v[150:151]
	v_add_f64 v[35:36], v[35:36], v[202:203]
	v_add_f64 v[76:77], v[76:77], v[98:99]
	v_add_f64 v[98:99], v[126:127], v[102:103]
	v_add_f64 v[102:103], v[128:129], v[112:113]
	v_add_f64 v[104:105], v[144:145], v[104:105]
	v_add_f64 v[112:113], v[160:161], v[208:209]
	v_add_f64 v[126:127], v[162:163], v[158:159]
	v_add_f64 v[106:107], v[182:183], v[106:107]
	v_add_f64 v[116:117], v[186:187], v[116:117]
	v_add_f64 v[29:30], v[29:30], v[210:211]
	v_fma_f64 v[27:28], v[96:97], s[42:43], v[136:137]
	v_fma_f64 v[136:137], v[96:97], s[6:7], v[82:83]
	;; [unrolled: 1-line block ×3, first 2 shown]
	v_mul_f64 v[96:97], v[88:89], s[36:37]
	v_add_f64 v[33:34], v[33:34], v[120:121]
	v_fma_f64 v[120:121], v[60:61], s[28:29], v[192:193]
	v_fma_f64 v[142:143], v[60:61], s[28:29], -v[192:193]
	v_add_f64 v[49:50], v[49:50], v[218:219]
	v_add_f64 v[51:52], v[51:52], v[118:119]
	;; [unrolled: 1-line block ×3, first 2 shown]
	v_mul_f64 v[88:89], v[88:89], s[40:41]
	v_add_f64 v[31:32], v[31:32], v[108:109]
	v_add_f64 v[144:145], v[188:189], v[220:221]
	v_fma_f64 v[132:133], v[60:61], s[18:19], -v[132:133]
	v_fma_f64 v[166:167], v[60:61], s[0:1], -v[166:167]
	v_add_f64 v[1:2], v[78:79], v[1:2]
	v_add_f64 v[3:4], v[80:81], v[3:4]
	;; [unrolled: 1-line block ×4, first 2 shown]
	v_mul_f64 v[68:69], v[90:91], s[0:1]
	v_mul_f64 v[62:63], v[64:65], s[36:37]
	v_fma_f64 v[246:247], v[58:59], s[30:31], v[152:153]
	v_fma_f64 v[216:217], v[45:46], s[10:11], v[154:155]
	v_add_f64 v[9:10], v[21:22], v[9:10]
	v_add_f64 v[11:12], v[23:24], v[11:12]
	v_fma_f64 v[21:22], v[60:61], s[10:11], v[190:191]
	v_fma_f64 v[23:24], v[60:61], s[10:11], -v[190:191]
	v_fma_f64 v[190:191], v[60:61], s[2:3], v[84:85]
	v_fma_f64 v[60:61], v[60:61], s[2:3], -v[84:85]
	v_add_f64 v[74:75], v[234:235], v[74:75]
	v_add_f64 v[78:79], v[156:157], v[100:101]
	v_mul_f64 v[172:173], v[90:91], s[24:25]
	v_mul_f64 v[70:71], v[64:65], s[26:27]
	v_fma_f64 v[252:253], v[58:59], s[22:23], v[168:169]
	v_fma_f64 v[176:177], v[45:46], s[2:3], v[170:171]
	v_add_f64 v[80:81], v[244:245], v[110:111]
	v_add_f64 v[94:95], v[248:249], v[114:115]
	v_mul_f64 v[39:40], v[90:91], s[28:29]
	v_mul_f64 v[200:201], v[90:91], s[2:3]
	;; [unrolled: 1-line block ×5, first 2 shown]
	v_fma_f64 v[238:239], v[58:59], s[38:39], v[138:139]
	v_fma_f64 v[122:123], v[45:46], s[24:25], v[66:67]
	v_fma_f64 v[84:85], v[58:59], s[26:27], v[138:139]
	v_fma_f64 v[138:139], v[58:59], s[16:17], v[152:153]
	v_fma_f64 v[152:153], v[58:59], s[6:7], v[168:169]
	v_fma_f64 v[168:169], v[58:59], s[34:35], v[194:195]
	v_fma_f64 v[108:109], v[58:59], s[42:43], v[194:195]
	v_fma_f64 v[128:129], v[58:59], s[4:5], v[196:197]
	v_add_f64 v[35:36], v[236:237], v[35:36]
	v_fma_f64 v[110:111], v[45:46], s[28:29], v[198:199]
	v_fma_f64 v[114:115], v[45:46], s[28:29], -v[198:199]
	v_add_f64 v[76:77], v[92:93], v[76:77]
	v_add_f64 v[92:93], v[130:131], v[98:99]
	;; [unrolled: 1-line block ×7, first 2 shown]
	v_mul_f64 v[228:229], v[64:65], s[40:41]
	v_add_f64 v[9:10], v[9:10], v[17:18]
	v_add_f64 v[11:12], v[11:12], v[19:20]
	v_fma_f64 v[17:18], v[58:59], s[36:37], v[196:197]
	v_fma_f64 v[19:20], v[58:59], s[20:21], v[86:87]
	;; [unrolled: 1-line block ×3, first 2 shown]
	v_fma_f64 v[86:87], v[45:46], s[10:11], -v[154:155]
	v_add_f64 v[21:22], v[21:22], v[126:127]
	v_add_f64 v[23:24], v[23:24], v[116:117]
	;; [unrolled: 1-line block ×3, first 2 shown]
	v_fma_f64 v[146:147], v[45:46], s[0:1], v[96:97]
	v_add_f64 v[29:30], v[120:121], v[49:50]
	v_add_f64 v[49:50], v[142:143], v[51:52]
	;; [unrolled: 1-line block ×3, first 2 shown]
	v_mul_f64 v[37:38], v[64:65], s[34:35]
	v_mul_f64 v[64:65], v[64:65], s[16:17]
	v_fma_f64 v[66:67], v[45:46], s[24:25], -v[66:67]
	v_fma_f64 v[100:101], v[45:46], s[2:3], -v[170:171]
	;; [unrolled: 1-line block ×3, first 2 shown]
	v_add_f64 v[27:28], v[27:28], v[31:32]
	v_fma_f64 v[31:32], v[45:46], s[18:19], v[88:89]
	v_fma_f64 v[45:46], v[45:46], s[18:19], -v[88:89]
	v_add_f64 v[88:89], v[190:191], v[144:145]
	v_add_f64 v[1:2], v[82:83], v[1:2]
	;; [unrolled: 1-line block ×5, first 2 shown]
	v_fma_f64 v[174:175], v[43:44], s[4:5], v[68:69]
	v_fma_f64 v[178:179], v[41:42], s[0:1], v[62:63]
	v_add_f64 v[60:61], v[246:247], v[74:75]
	v_add_f64 v[74:75], v[216:217], v[78:79]
	v_fma_f64 v[180:181], v[43:44], s[38:39], v[172:173]
	v_add_f64 v[78:79], v[252:253], v[80:81]
	v_add_f64 v[80:81], v[176:177], v[94:95]
	v_fma_f64 v[82:83], v[41:42], s[24:25], v[70:71]
	v_fma_f64 v[140:141], v[43:44], s[42:43], v[39:40]
	v_add_f64 v[35:36], v[122:123], v[35:36]
	v_fma_f64 v[39:40], v[43:44], s[34:35], v[39:40]
	v_fma_f64 v[68:69], v[43:44], s[36:37], v[68:69]
	v_add_f64 v[5:6], v[9:10], v[5:6]
	v_add_f64 v[7:8], v[11:12], v[7:8]
	v_fma_f64 v[94:95], v[43:44], s[26:27], v[172:173]
	v_fma_f64 v[112:113], v[43:44], s[6:7], v[200:201]
	;; [unrolled: 1-line block ×7, first 2 shown]
	v_add_f64 v[76:77], v[84:85], v[76:77]
	v_add_f64 v[84:85], v[138:139], v[92:93]
	;; [unrolled: 1-line block ×9, first 2 shown]
	v_fma_f64 v[24:25], v[41:42], s[2:3], v[226:227]
	v_add_f64 v[33:34], v[238:239], v[33:34]
	v_add_f64 v[108:109], v[146:147], v[29:30]
	;; [unrolled: 1-line block ×3, first 2 shown]
	v_fma_f64 v[51:52], v[41:42], s[18:19], v[228:229]
	v_add_f64 v[49:50], v[96:97], v[49:50]
	v_add_f64 v[88:89], v[31:32], v[88:89]
	v_fma_f64 v[96:97], v[41:42], s[10:11], v[64:65]
	v_add_f64 v[58:59], v[58:59], v[1:2]
	v_add_f64 v[45:46], v[45:46], v[3:4]
	v_fma_f64 v[64:65], v[41:42], s[10:11], -v[64:65]
	v_fma_f64 v[124:125], v[41:42], s[28:29], v[37:38]
	v_add_f64 v[28:29], v[17:18], v[27:28]
	v_fma_f64 v[110:111], v[41:42], s[18:19], -v[228:229]
	v_fma_f64 v[114:115], v[41:42], s[2:3], -v[226:227]
	v_add_f64 v[100:101], v[100:101], v[56:57]
	v_fma_f64 v[70:71], v[41:42], s[24:25], -v[70:71]
	v_fma_f64 v[62:63], v[41:42], s[0:1], -v[62:63]
	;; [unrolled: 1-line block ×3, first 2 shown]
	v_add_f64 v[66:67], v[66:67], v[47:48]
	v_add_f64 v[9:10], v[174:175], v[60:61]
	;; [unrolled: 1-line block ×7, first 2 shown]
	v_mad_u32_u24 v13, 0x9c0, v72, 0
	v_add_f64 v[18:19], v[39:40], v[76:77]
	v_add_f64 v[56:57], v[94:95], v[90:91]
	;; [unrolled: 1-line block ×19, first 2 shown]
	v_lshl_add_u32 v50, v73, 4, v13
	v_add_f64 v[20:21], v[126:127], v[66:67]
	ds_store_b128 v50, v[9:12] offset:384
	ds_store_b128 v50, v[14:17] offset:576
	;; [unrolled: 1-line block ×8, first 2 shown]
	ds_store_b128 v50, v[1:4]
	ds_store_b128 v50, v[5:8] offset:192
	ds_store_b128 v50, v[56:59] offset:1920
	;; [unrolled: 1-line block ×4, first 2 shown]
	s_waitcnt lgkmcnt(0)
	s_barrier
	buffer_gl0_inv
	s_and_saveexec_b32 s44, s33
	s_cbranch_execz .LBB0_43
; %bb.42:
	v_mul_hi_u32 v1, 0x13b13b14, v72
	s_add_i32 s33, 0, 0x7ec0
	v_mul_hi_u32 v0, 0x1a41a42, v0
	s_delay_alu instid0(VALU_DEP_2) | instskip(NEXT) | instid1(VALU_DEP_1)
	v_mul_u32_u24_e32 v1, 13, v1
	v_sub_nc_u32_e32 v62, v72, v1
	s_delay_alu instid0(VALU_DEP_1) | instskip(SKIP_1) | instid1(VALU_DEP_1)
	v_mul_lo_u32 v9, v62, v55
	v_add_nc_u32_e32 v10, 0x9c, v62
	v_mul_lo_u32 v26, v10, v55
	s_delay_alu instid0(VALU_DEP_3) | instskip(SKIP_2) | instid1(VALU_DEP_3)
	v_lshrrev_b32_e32 v1, 2, v9
	v_and_b32_e32 v2, 63, v9
	v_lshrrev_b32_e32 v9, 8, v9
	v_and_b32_e32 v1, 0x3f0, v1
	s_delay_alu instid0(VALU_DEP_3) | instskip(SKIP_1) | instid1(VALU_DEP_4)
	v_lshl_add_u32 v5, v2, 4, 0
	v_lshrrev_b32_e32 v14, 2, v26
	v_and_b32_e32 v9, 0x3f0, v9
	s_delay_alu instid0(VALU_DEP_4)
	v_add_nc_u32_e32 v1, s33, v1
	ds_load_b128 v[1:4], v1 offset:1024
	ds_load_b128 v[5:8], v5 offset:32448
	v_add_nc_u32_e32 v9, s33, v9
	ds_load_b128 v[9:12], v9 offset:2048
	s_waitcnt lgkmcnt(1)
	v_mul_f64 v[22:23], v[7:8], v[3:4]
	v_mul_f64 v[24:25], v[5:6], v[3:4]
	v_and_b32_e32 v4, 0x3f0, v14
	v_and_b32_e32 v14, 63, v26
	v_mul_lo_u32 v3, v55, -13
	s_delay_alu instid0(VALU_DEP_3) | instskip(NEXT) | instid1(VALU_DEP_3)
	v_add_nc_u32_e32 v4, s33, v4
	v_lshl_add_u32 v18, v14, 4, 0
	ds_load_b128 v[14:17], v4 offset:1024
	ds_load_b128 v[18:21], v18 offset:32448
	v_add_nc_u32_e32 v28, v26, v3
	v_lshrrev_b32_e32 v4, 8, v26
	s_delay_alu instid0(VALU_DEP_2) | instskip(NEXT) | instid1(VALU_DEP_2)
	v_lshrrev_b32_e32 v26, 8, v28
	v_and_b32_e32 v4, 0x3f0, v4
	s_delay_alu instid0(VALU_DEP_2) | instskip(NEXT) | instid1(VALU_DEP_2)
	v_and_b32_e32 v26, 0x3f0, v26
	v_add_nc_u32_e32 v4, s33, v4
	s_delay_alu instid0(VALU_DEP_2)
	v_add_nc_u32_e32 v26, s33, v26
	ds_load_b128 v[63:66], v4 offset:2048
	ds_load_b128 v[67:70], v26 offset:2048
	s_waitcnt lgkmcnt(2)
	v_mul_f64 v[26:27], v[20:21], v[16:17]
	v_lshrrev_b32_e32 v4, 2, v28
	v_fma_f64 v[126:127], v[5:6], v[1:2], -v[22:23]
	v_fma_f64 v[128:129], v[1:2], v[7:8], v[24:25]
	v_mul_f64 v[1:2], v[18:19], v[16:17]
	v_and_b32_e32 v5, 63, v28
	v_and_b32_e32 v4, 0x3f0, v4
	s_delay_alu instid0(VALU_DEP_2) | instskip(NEXT) | instid1(VALU_DEP_2)
	v_lshl_add_u32 v5, v5, 4, 0
	v_add_nc_u32_e32 v8, s33, v4
	v_fma_f64 v[130:131], v[18:19], v[14:15], -v[26:27]
	v_fma_f64 v[132:133], v[20:21], v[14:15], v[1:2]
	ds_load_b128 v[4:7], v5 offset:32448
	ds_load_b128 v[14:17], v8 offset:1024
	v_add_nc_u32_e32 v8, v28, v3
	s_delay_alu instid0(VALU_DEP_1) | instskip(SKIP_2) | instid1(VALU_DEP_3)
	v_lshrrev_b32_e32 v18, 2, v8
	v_and_b32_e32 v19, 63, v8
	v_add_nc_u32_e32 v20, v8, v3
	v_and_b32_e32 v18, 0x3f0, v18
	s_delay_alu instid0(VALU_DEP_3) | instskip(NEXT) | instid1(VALU_DEP_2)
	v_lshl_add_u32 v19, v19, 4, 0
	v_add_nc_u32_e32 v18, s33, v18
	s_waitcnt lgkmcnt(0)
	v_mul_f64 v[1:2], v[6:7], v[16:17]
	v_mul_f64 v[16:17], v[4:5], v[16:17]
	s_delay_alu instid0(VALU_DEP_2) | instskip(NEXT) | instid1(VALU_DEP_2)
	v_fma_f64 v[134:135], v[4:5], v[14:15], -v[1:2]
	v_fma_f64 v[136:137], v[6:7], v[14:15], v[16:17]
	ds_load_b128 v[4:7], v18 offset:1024
	ds_load_b128 v[14:17], v19 offset:32448
	v_lshrrev_b32_e32 v1, 8, v8
	v_lshrrev_b32_e32 v2, 8, v20
	s_delay_alu instid0(VALU_DEP_2) | instskip(NEXT) | instid1(VALU_DEP_2)
	v_and_b32_e32 v1, 0x3f0, v1
	v_and_b32_e32 v2, 0x3f0, v2
	s_delay_alu instid0(VALU_DEP_2) | instskip(NEXT) | instid1(VALU_DEP_2)
	v_add_nc_u32_e32 v1, s33, v1
	v_add_nc_u32_e32 v2, s33, v2
	ds_load_b128 v[74:77], v1 offset:2048
	ds_load_b128 v[78:81], v2 offset:2048
	s_waitcnt lgkmcnt(2)
	v_mul_f64 v[1:2], v[16:17], v[6:7]
	s_delay_alu instid0(VALU_DEP_1) | instskip(SKIP_1) | instid1(VALU_DEP_1)
	v_fma_f64 v[138:139], v[14:15], v[4:5], -v[1:2]
	v_mul_f64 v[1:2], v[14:15], v[6:7]
	v_fma_f64 v[140:141], v[16:17], v[4:5], v[1:2]
	v_lshrrev_b32_e32 v1, 2, v20
	v_and_b32_e32 v2, 63, v20
	s_delay_alu instid0(VALU_DEP_2) | instskip(NEXT) | instid1(VALU_DEP_2)
	v_and_b32_e32 v1, 0x3f0, v1
	v_lshl_add_u32 v2, v2, 4, 0
	s_delay_alu instid0(VALU_DEP_2) | instskip(SKIP_4) | instid1(VALU_DEP_1)
	v_add_nc_u32_e32 v1, s33, v1
	ds_load_b128 v[4:7], v2 offset:32448
	ds_load_b128 v[14:17], v1 offset:1024
	s_waitcnt lgkmcnt(0)
	v_mul_f64 v[1:2], v[6:7], v[16:17]
	v_fma_f64 v[142:143], v[4:5], v[14:15], -v[1:2]
	v_mul_f64 v[1:2], v[4:5], v[16:17]
	s_delay_alu instid0(VALU_DEP_1) | instskip(SKIP_1) | instid1(VALU_DEP_1)
	v_fma_f64 v[144:145], v[6:7], v[14:15], v[1:2]
	v_add_nc_u32_e32 v1, v20, v3
	v_add_nc_u32_e32 v8, v1, v3
	v_lshrrev_b32_e32 v2, 2, v1
	v_lshrrev_b32_e32 v4, 8, v1
	v_and_b32_e32 v1, 63, v1
	s_delay_alu instid0(VALU_DEP_4) | instskip(NEXT) | instid1(VALU_DEP_4)
	v_lshrrev_b32_e32 v5, 8, v8
	v_and_b32_e32 v2, 0x3f0, v2
	s_delay_alu instid0(VALU_DEP_4) | instskip(NEXT) | instid1(VALU_DEP_4)
	v_and_b32_e32 v4, 0x3f0, v4
	v_lshl_add_u32 v1, v1, 4, 0
	s_delay_alu instid0(VALU_DEP_4) | instskip(NEXT) | instid1(VALU_DEP_4)
	v_and_b32_e32 v5, 0x3f0, v5
	v_add_nc_u32_e32 v2, s33, v2
	s_delay_alu instid0(VALU_DEP_4) | instskip(NEXT) | instid1(VALU_DEP_3)
	v_add_nc_u32_e32 v18, s33, v4
	v_add_nc_u32_e32 v19, s33, v5
	ds_load_b128 v[4:7], v2 offset:1024
	ds_load_b128 v[14:17], v1 offset:32448
	ds_load_b128 v[82:85], v18 offset:2048
	ds_load_b128 v[86:89], v19 offset:2048
	s_waitcnt lgkmcnt(2)
	v_mul_f64 v[1:2], v[16:17], v[6:7]
	s_delay_alu instid0(VALU_DEP_1) | instskip(SKIP_1) | instid1(VALU_DEP_1)
	v_fma_f64 v[146:147], v[14:15], v[4:5], -v[1:2]
	v_mul_f64 v[1:2], v[14:15], v[6:7]
	v_fma_f64 v[148:149], v[16:17], v[4:5], v[1:2]
	v_lshrrev_b32_e32 v1, 2, v8
	v_and_b32_e32 v2, 63, v8
	s_delay_alu instid0(VALU_DEP_2) | instskip(NEXT) | instid1(VALU_DEP_2)
	v_and_b32_e32 v1, 0x3f0, v1
	v_lshl_add_u32 v2, v2, 4, 0
	s_delay_alu instid0(VALU_DEP_2) | instskip(SKIP_4) | instid1(VALU_DEP_1)
	v_add_nc_u32_e32 v1, s33, v1
	ds_load_b128 v[4:7], v2 offset:32448
	ds_load_b128 v[14:17], v1 offset:1024
	s_waitcnt lgkmcnt(0)
	v_mul_f64 v[1:2], v[6:7], v[16:17]
	v_fma_f64 v[150:151], v[4:5], v[14:15], -v[1:2]
	v_mul_f64 v[1:2], v[4:5], v[16:17]
	s_delay_alu instid0(VALU_DEP_1) | instskip(SKIP_1) | instid1(VALU_DEP_1)
	v_fma_f64 v[152:153], v[6:7], v[14:15], v[1:2]
	v_add_nc_u32_e32 v1, v8, v3
	v_add_nc_u32_e32 v8, v1, v3
	v_lshrrev_b32_e32 v2, 2, v1
	v_lshrrev_b32_e32 v4, 8, v1
	v_and_b32_e32 v1, 63, v1
	s_delay_alu instid0(VALU_DEP_4) | instskip(NEXT) | instid1(VALU_DEP_4)
	v_lshrrev_b32_e32 v5, 8, v8
	v_and_b32_e32 v2, 0x3f0, v2
	s_delay_alu instid0(VALU_DEP_4) | instskip(NEXT) | instid1(VALU_DEP_4)
	v_and_b32_e32 v4, 0x3f0, v4
	v_lshl_add_u32 v1, v1, 4, 0
	s_delay_alu instid0(VALU_DEP_4) | instskip(NEXT) | instid1(VALU_DEP_4)
	v_and_b32_e32 v5, 0x3f0, v5
	v_add_nc_u32_e32 v2, s33, v2
	s_delay_alu instid0(VALU_DEP_4) | instskip(NEXT) | instid1(VALU_DEP_3)
	v_add_nc_u32_e32 v18, s33, v4
	v_add_nc_u32_e32 v19, s33, v5
	ds_load_b128 v[4:7], v2 offset:1024
	ds_load_b128 v[14:17], v1 offset:32448
	ds_load_b128 v[90:93], v18 offset:2048
	ds_load_b128 v[94:97], v19 offset:2048
	s_waitcnt lgkmcnt(2)
	v_mul_f64 v[1:2], v[16:17], v[6:7]
	s_delay_alu instid0(VALU_DEP_1) | instskip(SKIP_1) | instid1(VALU_DEP_1)
	v_fma_f64 v[154:155], v[14:15], v[4:5], -v[1:2]
	v_mul_f64 v[1:2], v[14:15], v[6:7]
	v_fma_f64 v[156:157], v[16:17], v[4:5], v[1:2]
	v_lshrrev_b32_e32 v1, 2, v8
	v_and_b32_e32 v2, 63, v8
	s_delay_alu instid0(VALU_DEP_2) | instskip(NEXT) | instid1(VALU_DEP_2)
	v_and_b32_e32 v1, 0x3f0, v1
	v_lshl_add_u32 v2, v2, 4, 0
	s_delay_alu instid0(VALU_DEP_2) | instskip(SKIP_4) | instid1(VALU_DEP_1)
	v_add_nc_u32_e32 v1, s33, v1
	ds_load_b128 v[4:7], v2 offset:32448
	ds_load_b128 v[14:17], v1 offset:1024
	s_waitcnt lgkmcnt(0)
	v_mul_f64 v[1:2], v[6:7], v[16:17]
	v_fma_f64 v[158:159], v[4:5], v[14:15], -v[1:2]
	v_mul_f64 v[1:2], v[4:5], v[16:17]
	s_delay_alu instid0(VALU_DEP_1) | instskip(SKIP_1) | instid1(VALU_DEP_1)
	v_fma_f64 v[160:161], v[6:7], v[14:15], v[1:2]
	v_add_nc_u32_e32 v1, v8, v3
	v_add_nc_u32_e32 v8, v1, v3
	v_lshrrev_b32_e32 v2, 2, v1
	v_lshrrev_b32_e32 v4, 8, v1
	v_and_b32_e32 v1, 63, v1
	s_delay_alu instid0(VALU_DEP_4) | instskip(NEXT) | instid1(VALU_DEP_4)
	v_lshrrev_b32_e32 v5, 8, v8
	v_and_b32_e32 v2, 0x3f0, v2
	s_delay_alu instid0(VALU_DEP_4) | instskip(NEXT) | instid1(VALU_DEP_4)
	v_and_b32_e32 v4, 0x3f0, v4
	v_lshl_add_u32 v1, v1, 4, 0
	s_delay_alu instid0(VALU_DEP_4) | instskip(NEXT) | instid1(VALU_DEP_4)
	v_and_b32_e32 v5, 0x3f0, v5
	v_add_nc_u32_e32 v2, s33, v2
	s_delay_alu instid0(VALU_DEP_4) | instskip(NEXT) | instid1(VALU_DEP_3)
	v_add_nc_u32_e32 v18, s33, v4
	v_add_nc_u32_e32 v19, s33, v5
	ds_load_b128 v[4:7], v2 offset:1024
	ds_load_b128 v[14:17], v1 offset:32448
	ds_load_b128 v[98:101], v18 offset:2048
	ds_load_b128 v[102:105], v19 offset:2048
	s_waitcnt lgkmcnt(2)
	v_mul_f64 v[1:2], v[16:17], v[6:7]
	s_delay_alu instid0(VALU_DEP_1) | instskip(SKIP_1) | instid1(VALU_DEP_1)
	v_fma_f64 v[162:163], v[14:15], v[4:5], -v[1:2]
	v_mul_f64 v[1:2], v[14:15], v[6:7]
	v_fma_f64 v[164:165], v[16:17], v[4:5], v[1:2]
	v_lshrrev_b32_e32 v1, 2, v8
	v_and_b32_e32 v2, 63, v8
	s_delay_alu instid0(VALU_DEP_2) | instskip(NEXT) | instid1(VALU_DEP_2)
	v_and_b32_e32 v1, 0x3f0, v1
	v_lshl_add_u32 v2, v2, 4, 0
	s_delay_alu instid0(VALU_DEP_2) | instskip(SKIP_4) | instid1(VALU_DEP_1)
	v_add_nc_u32_e32 v1, s33, v1
	ds_load_b128 v[4:7], v2 offset:32448
	ds_load_b128 v[14:17], v1 offset:1024
	s_waitcnt lgkmcnt(0)
	v_mul_f64 v[1:2], v[6:7], v[16:17]
	v_fma_f64 v[166:167], v[4:5], v[14:15], -v[1:2]
	v_mul_f64 v[1:2], v[4:5], v[16:17]
	s_delay_alu instid0(VALU_DEP_1) | instskip(SKIP_1) | instid1(VALU_DEP_1)
	v_fma_f64 v[168:169], v[6:7], v[14:15], v[1:2]
	v_add_nc_u32_e32 v1, v8, v3
	v_add_nc_u32_e32 v16, v1, v3
	v_lshrrev_b32_e32 v2, 2, v1
	v_lshrrev_b32_e32 v3, 8, v1
	v_and_b32_e32 v1, 63, v1
	s_delay_alu instid0(VALU_DEP_4) | instskip(NEXT) | instid1(VALU_DEP_4)
	v_lshrrev_b32_e32 v4, 8, v16
	v_and_b32_e32 v2, 0x3f0, v2
	s_delay_alu instid0(VALU_DEP_4) | instskip(NEXT) | instid1(VALU_DEP_4)
	v_and_b32_e32 v3, 0x3f0, v3
	v_lshl_add_u32 v5, v1, 4, 0
	s_delay_alu instid0(VALU_DEP_4) | instskip(NEXT) | instid1(VALU_DEP_4)
	v_and_b32_e32 v4, 0x3f0, v4
	v_add_nc_u32_e32 v2, s33, v2
	s_delay_alu instid0(VALU_DEP_4) | instskip(NEXT) | instid1(VALU_DEP_3)
	v_add_nc_u32_e32 v14, s33, v3
	v_add_nc_u32_e32 v15, s33, v4
	ds_load_b128 v[1:4], v2 offset:1024
	ds_load_b128 v[5:8], v5 offset:32448
	ds_load_b128 v[106:109], v14 offset:2048
	ds_load_b128 v[110:113], v15 offset:2048
	s_waitcnt lgkmcnt(2)
	v_mul_f64 v[14:15], v[7:8], v[3:4]
	v_mul_f64 v[3:4], v[5:6], v[3:4]
	s_delay_alu instid0(VALU_DEP_2) | instskip(NEXT) | instid1(VALU_DEP_2)
	v_fma_f64 v[170:171], v[5:6], v[1:2], -v[14:15]
	v_fma_f64 v[172:173], v[7:8], v[1:2], v[3:4]
	v_lshrrev_b32_e32 v1, 2, v16
	v_and_b32_e32 v2, 63, v16
	s_delay_alu instid0(VALU_DEP_2) | instskip(NEXT) | instid1(VALU_DEP_2)
	v_and_b32_e32 v1, 0x3f0, v1
	v_lshl_add_u32 v2, v2, 4, 0
	s_delay_alu instid0(VALU_DEP_2) | instskip(SKIP_4) | instid1(VALU_DEP_1)
	v_add_nc_u32_e32 v5, s33, v1
	ds_load_b128 v[1:4], v2 offset:32448
	ds_load_b128 v[5:8], v5 offset:1024
	s_waitcnt lgkmcnt(0)
	v_mul_f64 v[14:15], v[3:4], v[7:8]
	v_fma_f64 v[174:175], v[1:2], v[5:6], -v[14:15]
	v_mul_f64 v[1:2], v[1:2], v[7:8]
	s_delay_alu instid0(VALU_DEP_1) | instskip(SKIP_2) | instid1(VALU_DEP_1)
	v_fma_f64 v[176:177], v[3:4], v[5:6], v[1:2]
	v_mul_i32_i24_e32 v1, 0xfffff700, v72
	v_lshlrev_b32_e32 v2, 4, v73
	v_add3_u32 v47, v13, v1, v2
	v_mul_u32_u24_e32 v1, 12, v62
	s_delay_alu instid0(VALU_DEP_1)
	v_lshlrev_b32_e32 v48, 4, v1
	global_load_b128 v[1:4], v48, s[14:15] offset:80
	ds_load_b128 v[5:8], v47 offset:14976
	ds_load_b128 v[19:22], v47 offset:17472
	global_load_b128 v[31:34], v48, s[14:15] offset:64
	s_waitcnt vmcnt(1) lgkmcnt(1)
	v_mul_f64 v[13:14], v[5:6], v[3:4]
	v_mul_f64 v[3:4], v[7:8], v[3:4]
	s_delay_alu instid0(VALU_DEP_2) | instskip(NEXT) | instid1(VALU_DEP_2)
	v_fma_f64 v[13:14], v[7:8], v[1:2], v[13:14]
	v_fma_f64 v[15:16], v[5:6], v[1:2], -v[3:4]
	s_clause 0x1
	global_load_b128 v[1:4], v48, s[14:15] offset:96
	global_load_b128 v[5:8], v48, s[14:15] offset:112
	s_waitcnt vmcnt(1) lgkmcnt(0)
	v_mul_f64 v[17:18], v[19:20], v[3:4]
	v_mul_f64 v[3:4], v[21:22], v[3:4]
	s_delay_alu instid0(VALU_DEP_2)
	v_fma_f64 v[17:18], v[21:22], v[1:2], v[17:18]
	global_load_b128 v[21:24], v48, s[14:15]
	v_fma_f64 v[19:20], v[19:20], v[1:2], -v[3:4]
	ds_load_b128 v[27:30], v47 offset:2496
	ds_load_b128 v[1:4], v47
	global_load_b128 v[35:38], v48, s[14:15] offset:176
	ds_load_b128 v[39:42], v47 offset:29952
	s_clause 0x1
	global_load_b128 v[49:52], v48, s[14:15] offset:16
	global_load_b128 v[56:59], v48, s[14:15] offset:160
	v_add_f64 v[180:181], v[15:16], -v[19:20]
	s_waitcnt vmcnt(3) lgkmcnt(2)
	v_mul_f64 v[25:26], v[27:28], v[23:24]
	v_mul_f64 v[23:24], v[29:30], v[23:24]
	s_delay_alu instid0(VALU_DEP_2) | instskip(NEXT) | instid1(VALU_DEP_2)
	v_fma_f64 v[25:26], v[29:30], v[21:22], v[25:26]
	v_fma_f64 v[27:28], v[27:28], v[21:22], -v[23:24]
	s_waitcnt vmcnt(2) lgkmcnt(0)
	v_mul_f64 v[21:22], v[39:40], v[37:38]
	v_mul_f64 v[23:24], v[41:42], v[37:38]
	s_delay_alu instid0(VALU_DEP_2) | instskip(NEXT) | instid1(VALU_DEP_2)
	v_fma_f64 v[21:22], v[41:42], v[35:36], v[21:22]
	v_fma_f64 v[23:24], v[39:40], v[35:36], -v[23:24]
	ds_load_b128 v[35:38], v47 offset:12480
	ds_load_b128 v[43:46], v47 offset:9984
	s_waitcnt lgkmcnt(1)
	v_mul_f64 v[29:30], v[35:36], v[33:34]
	v_mul_f64 v[33:34], v[37:38], v[33:34]
	s_delay_alu instid0(VALU_DEP_2) | instskip(NEXT) | instid1(VALU_DEP_2)
	v_fma_f64 v[29:30], v[37:38], v[31:32], v[29:30]
	v_fma_f64 v[33:34], v[35:36], v[31:32], -v[33:34]
	ds_load_b128 v[35:38], v47 offset:19968
	ds_load_b128 v[114:117], v47 offset:22464
	s_waitcnt lgkmcnt(1)
	v_mul_f64 v[31:32], v[35:36], v[7:8]
	v_mul_f64 v[7:8], v[37:38], v[7:8]
	s_delay_alu instid0(VALU_DEP_2) | instskip(NEXT) | instid1(VALU_DEP_2)
	v_fma_f64 v[31:32], v[37:38], v[5:6], v[31:32]
	v_fma_f64 v[35:36], v[35:36], v[5:6], -v[7:8]
	s_clause 0x1
	global_load_b128 v[5:8], v48, s[14:15] offset:48
	global_load_b128 v[118:121], v48, s[14:15] offset:32
	s_waitcnt vmcnt(1)
	v_mul_f64 v[37:38], v[43:44], v[7:8]
	v_mul_f64 v[7:8], v[45:46], v[7:8]
	s_delay_alu instid0(VALU_DEP_2) | instskip(NEXT) | instid1(VALU_DEP_2)
	v_fma_f64 v[41:42], v[45:46], v[5:6], v[37:38]
	v_fma_f64 v[43:44], v[43:44], v[5:6], -v[7:8]
	s_clause 0x1
	global_load_b128 v[5:8], v48, s[14:15] offset:128
	global_load_b128 v[122:125], v48, s[14:15] offset:144
	s_waitcnt vmcnt(1) lgkmcnt(0)
	v_mul_f64 v[37:38], v[114:115], v[7:8]
	v_mul_f64 v[7:8], v[116:117], v[7:8]
	s_delay_alu instid0(VALU_DEP_2) | instskip(NEXT) | instid1(VALU_DEP_2)
	v_fma_f64 v[37:38], v[116:117], v[5:6], v[37:38]
	v_fma_f64 v[39:40], v[114:115], v[5:6], -v[7:8]
	ds_load_b128 v[5:8], v47 offset:7488
	ds_load_b128 v[114:117], v47 offset:4992
	s_waitcnt lgkmcnt(1)
	v_mul_f64 v[45:46], v[5:6], v[120:121]
	s_delay_alu instid0(VALU_DEP_1) | instskip(SKIP_1) | instid1(VALU_DEP_1)
	v_fma_f64 v[54:55], v[7:8], v[118:119], v[45:46]
	v_mul_f64 v[7:8], v[7:8], v[120:121]
	v_fma_f64 v[60:61], v[5:6], v[118:119], -v[7:8]
	ds_load_b128 v[5:8], v47 offset:24960
	ds_load_b128 v[118:121], v47 offset:27456
	s_waitcnt vmcnt(0) lgkmcnt(1)
	v_mul_f64 v[45:46], v[5:6], v[124:125]
	s_delay_alu instid0(VALU_DEP_1) | instskip(SKIP_1) | instid1(VALU_DEP_1)
	v_fma_f64 v[45:46], v[7:8], v[122:123], v[45:46]
	v_mul_f64 v[7:8], v[7:8], v[124:125]
	v_fma_f64 v[47:48], v[5:6], v[122:123], -v[7:8]
	v_mul_f64 v[5:6], v[114:115], v[51:52]
	v_mul_f64 v[7:8], v[132:133], v[65:66]
	s_delay_alu instid0(VALU_DEP_2) | instskip(SKIP_1) | instid1(VALU_DEP_1)
	v_fma_f64 v[122:123], v[116:117], v[49:50], v[5:6]
	v_mul_f64 v[5:6], v[116:117], v[51:52]
	v_fma_f64 v[114:115], v[114:115], v[49:50], -v[5:6]
	s_waitcnt lgkmcnt(0)
	v_mul_f64 v[5:6], v[118:119], v[58:59]
	s_delay_alu instid0(VALU_DEP_1) | instskip(SKIP_1) | instid1(VALU_DEP_1)
	v_fma_f64 v[51:52], v[120:121], v[56:57], v[5:6]
	v_mul_f64 v[5:6], v[120:121], v[58:59]
	v_fma_f64 v[58:59], v[118:119], v[56:57], -v[5:6]
	v_mul_f64 v[5:6], v[11:12], v[128:129]
	s_delay_alu instid0(VALU_DEP_1) | instskip(SKIP_1) | instid1(VALU_DEP_1)
	v_fma_f64 v[49:50], v[9:10], v[126:127], -v[5:6]
	v_mul_f64 v[5:6], v[11:12], v[126:127]
	v_fma_f64 v[56:57], v[9:10], v[128:129], v[5:6]
	v_mul_f64 v[5:6], v[130:131], v[65:66]
	s_delay_alu instid0(VALU_DEP_1) | instskip(SKIP_4) | instid1(VALU_DEP_3)
	v_fma_f64 v[5:6], v[63:64], v[132:133], v[5:6]
	v_fma_f64 v[63:64], v[63:64], v[130:131], -v[7:8]
	v_mul_f64 v[7:8], v[134:135], v[69:70]
	v_add_f64 v[130:131], v[122:123], -v[51:52]
	v_add_f64 v[132:133], v[114:115], v[58:59]
	v_fma_f64 v[65:66], v[67:68], v[136:137], v[7:8]
	v_mul_f64 v[7:8], v[136:137], v[69:70]
	s_delay_alu instid0(VALU_DEP_4) | instskip(SKIP_1) | instid1(VALU_DEP_3)
	v_mul_f64 v[190:191], v[130:131], s[40:41]
	v_mul_f64 v[214:215], v[130:131], s[34:35]
	v_fma_f64 v[67:68], v[67:68], v[134:135], -v[7:8]
	v_mul_f64 v[7:8], v[138:139], v[76:77]
	v_mul_f64 v[134:135], v[130:131], s[6:7]
	v_fma_f64 v[192:193], v[132:133], s[18:19], v[190:191]
	v_fma_f64 v[216:217], v[132:133], s[28:29], v[214:215]
	s_delay_alu instid0(VALU_DEP_4) | instskip(SKIP_2) | instid1(VALU_DEP_2)
	v_fma_f64 v[69:70], v[74:75], v[140:141], v[7:8]
	v_mul_f64 v[7:8], v[140:141], v[76:77]
	v_fma_f64 v[136:137], v[132:133], s[2:3], v[134:135]
	v_fma_f64 v[71:72], v[74:75], v[138:139], -v[7:8]
	v_mul_f64 v[7:8], v[142:143], v[80:81]
	v_add_f64 v[138:139], v[60:61], -v[47:48]
	s_delay_alu instid0(VALU_DEP_2) | instskip(SKIP_2) | instid1(VALU_DEP_2)
	v_fma_f64 v[11:12], v[78:79], v[144:145], v[7:8]
	v_mul_f64 v[7:8], v[144:145], v[80:81]
	v_add_f64 v[144:145], v[60:61], v[47:48]
	v_fma_f64 v[9:10], v[78:79], v[142:143], -v[7:8]
	v_mul_f64 v[7:8], v[146:147], v[84:85]
	s_delay_alu instid0(VALU_DEP_1) | instskip(SKIP_1) | instid1(VALU_DEP_1)
	v_fma_f64 v[116:117], v[82:83], v[148:149], v[7:8]
	v_mul_f64 v[7:8], v[148:149], v[84:85]
	v_fma_f64 v[118:119], v[82:83], v[146:147], -v[7:8]
	v_mul_f64 v[7:8], v[150:151], v[88:89]
	s_delay_alu instid0(VALU_DEP_1) | instskip(SKIP_1) | instid1(VALU_DEP_1)
	v_fma_f64 v[120:121], v[86:87], v[152:153], v[7:8]
	v_mul_f64 v[7:8], v[152:153], v[88:89]
	v_fma_f64 v[124:125], v[86:87], v[150:151], -v[7:8]
	v_mul_f64 v[7:8], v[154:155], v[92:93]
	v_add_f64 v[150:151], v[43:44], -v[39:40]
	s_delay_alu instid0(VALU_DEP_2) | instskip(SKIP_2) | instid1(VALU_DEP_2)
	v_fma_f64 v[126:127], v[90:91], v[156:157], v[7:8]
	v_mul_f64 v[7:8], v[156:157], v[92:93]
	v_add_f64 v[156:157], v[43:44], v[39:40]
	v_fma_f64 v[91:92], v[90:91], v[154:155], -v[7:8]
	v_mul_f64 v[7:8], v[158:159], v[96:97]
	s_delay_alu instid0(VALU_DEP_1) | instskip(SKIP_1) | instid1(VALU_DEP_1)
	v_fma_f64 v[87:88], v[94:95], v[160:161], v[7:8]
	v_mul_f64 v[7:8], v[160:161], v[96:97]
	v_fma_f64 v[93:94], v[94:95], v[158:159], -v[7:8]
	v_mul_f64 v[7:8], v[162:163], v[100:101]
	v_add_f64 v[95:96], v[25:26], v[21:22]
	s_delay_alu instid0(VALU_DEP_2) | instskip(SKIP_1) | instid1(VALU_DEP_1)
	v_fma_f64 v[83:84], v[98:99], v[164:165], v[7:8]
	v_mul_f64 v[7:8], v[164:165], v[100:101]
	v_fma_f64 v[89:90], v[98:99], v[162:163], -v[7:8]
	v_mul_f64 v[7:8], v[166:167], v[104:105]
	v_mul_f64 v[97:98], v[95:96], s[0:1]
	v_add_f64 v[99:100], v[122:123], v[51:52]
	v_add_f64 v[162:163], v[33:34], -v[35:36]
	s_delay_alu instid0(VALU_DEP_4) | instskip(SKIP_2) | instid1(VALU_DEP_2)
	v_fma_f64 v[79:80], v[102:103], v[168:169], v[7:8]
	v_mul_f64 v[7:8], v[168:169], v[104:105]
	v_add_f64 v[168:169], v[33:34], v[35:36]
	v_fma_f64 v[85:86], v[102:103], v[166:167], -v[7:8]
	v_mul_f64 v[7:8], v[170:171], v[108:109]
	v_add_f64 v[103:104], v[27:28], -v[23:24]
	v_mul_f64 v[101:102], v[99:100], s[2:3]
	s_delay_alu instid0(VALU_DEP_3) | instskip(SKIP_1) | instid1(VALU_DEP_1)
	v_fma_f64 v[75:76], v[106:107], v[172:173], v[7:8]
	v_mul_f64 v[7:8], v[172:173], v[108:109]
	v_fma_f64 v[81:82], v[106:107], v[170:171], -v[7:8]
	v_mul_f64 v[7:8], v[174:175], v[112:113]
	v_add_f64 v[105:106], v[114:115], -v[58:59]
	s_delay_alu instid0(VALU_DEP_2) | instskip(SKIP_1) | instid1(VALU_DEP_3)
	v_fma_f64 v[73:74], v[110:111], v[176:177], v[7:8]
	v_mul_f64 v[7:8], v[176:177], v[112:113]
	v_fma_f64 v[107:108], v[105:106], s[22:23], v[101:102]
	s_delay_alu instid0(VALU_DEP_2) | instskip(SKIP_4) | instid1(VALU_DEP_4)
	v_fma_f64 v[77:78], v[110:111], v[174:175], -v[7:8]
	v_fma_f64 v[7:8], v[103:104], s[36:37], v[97:98]
	v_add_f64 v[109:110], v[27:28], v[23:24]
	v_add_f64 v[174:175], v[15:16], v[19:20]
	;; [unrolled: 1-line block ×4, first 2 shown]
	s_delay_alu instid0(VALU_DEP_2) | instskip(NEXT) | instid1(VALU_DEP_2)
	v_add_f64 v[27:28], v[27:28], v[114:115]
	v_add_f64 v[7:8], v[107:108], v[7:8]
	v_add_f64 v[107:108], v[25:26], -v[21:22]
	v_add_f64 v[25:26], v[3:4], v[25:26]
	s_delay_alu instid0(VALU_DEP_4) | instskip(NEXT) | instid1(VALU_DEP_3)
	v_add_f64 v[27:28], v[27:28], v[60:61]
	v_mul_f64 v[111:112], v[107:108], s[4:5]
	s_delay_alu instid0(VALU_DEP_3) | instskip(NEXT) | instid1(VALU_DEP_3)
	v_add_f64 v[25:26], v[25:26], v[122:123]
	v_add_f64 v[27:28], v[27:28], v[43:44]
	s_delay_alu instid0(VALU_DEP_3) | instskip(NEXT) | instid1(VALU_DEP_3)
	v_fma_f64 v[128:129], v[109:110], s[0:1], v[111:112]
	v_add_f64 v[25:26], v[25:26], v[54:55]
	s_delay_alu instid0(VALU_DEP_3) | instskip(NEXT) | instid1(VALU_DEP_3)
	v_add_f64 v[27:28], v[27:28], v[33:34]
	v_add_f64 v[128:129], v[1:2], v[128:129]
	s_delay_alu instid0(VALU_DEP_3) | instskip(NEXT) | instid1(VALU_DEP_3)
	v_add_f64 v[25:26], v[25:26], v[41:42]
	v_add_f64 v[15:16], v[27:28], v[15:16]
	s_delay_alu instid0(VALU_DEP_3) | instskip(SKIP_1) | instid1(VALU_DEP_4)
	v_add_f64 v[128:129], v[136:137], v[128:129]
	v_add_f64 v[136:137], v[54:55], v[45:46]
	;; [unrolled: 1-line block ×3, first 2 shown]
	s_delay_alu instid0(VALU_DEP_4) | instskip(NEXT) | instid1(VALU_DEP_3)
	v_add_f64 v[15:16], v[15:16], v[19:20]
	v_mul_f64 v[140:141], v[136:137], s[10:11]
	s_delay_alu instid0(VALU_DEP_2) | instskip(NEXT) | instid1(VALU_DEP_2)
	v_add_f64 v[15:16], v[15:16], v[35:36]
	v_fma_f64 v[142:143], v[138:139], s[16:17], v[140:141]
	s_delay_alu instid0(VALU_DEP_2) | instskip(NEXT) | instid1(VALU_DEP_2)
	v_add_f64 v[15:16], v[15:16], v[39:40]
	v_add_f64 v[7:8], v[142:143], v[7:8]
	v_add_f64 v[142:143], v[54:55], -v[45:46]
	s_delay_alu instid0(VALU_DEP_3) | instskip(NEXT) | instid1(VALU_DEP_2)
	v_add_f64 v[15:16], v[15:16], v[47:48]
	v_mul_f64 v[146:147], v[142:143], s[30:31]
	s_delay_alu instid0(VALU_DEP_2) | instskip(NEXT) | instid1(VALU_DEP_2)
	v_add_f64 v[15:16], v[15:16], v[58:59]
	v_fma_f64 v[148:149], v[144:145], s[10:11], v[146:147]
	s_delay_alu instid0(VALU_DEP_1) | instskip(SKIP_1) | instid1(VALU_DEP_1)
	v_add_f64 v[128:129], v[148:149], v[128:129]
	v_add_f64 v[148:149], v[41:42], v[37:38]
	v_mul_f64 v[152:153], v[148:149], s[18:19]
	s_delay_alu instid0(VALU_DEP_1) | instskip(NEXT) | instid1(VALU_DEP_1)
	v_fma_f64 v[154:155], v[150:151], s[20:21], v[152:153]
	v_add_f64 v[7:8], v[154:155], v[7:8]
	v_add_f64 v[154:155], v[41:42], -v[37:38]
	s_delay_alu instid0(VALU_DEP_1) | instskip(NEXT) | instid1(VALU_DEP_1)
	v_mul_f64 v[158:159], v[154:155], s[40:41]
	v_fma_f64 v[160:161], v[156:157], s[18:19], v[158:159]
	s_delay_alu instid0(VALU_DEP_1) | instskip(SKIP_1) | instid1(VALU_DEP_1)
	v_add_f64 v[128:129], v[160:161], v[128:129]
	v_add_f64 v[160:161], v[29:30], v[31:32]
	v_mul_f64 v[164:165], v[160:161], s[24:25]
	s_delay_alu instid0(VALU_DEP_1) | instskip(NEXT) | instid1(VALU_DEP_1)
	v_fma_f64 v[166:167], v[162:163], s[38:39], v[164:165]
	v_add_f64 v[7:8], v[166:167], v[7:8]
	v_add_f64 v[166:167], v[29:30], -v[31:32]
	s_delay_alu instid0(VALU_DEP_1) | instskip(NEXT) | instid1(VALU_DEP_1)
	v_mul_f64 v[170:171], v[166:167], s[26:27]
	v_fma_f64 v[172:173], v[168:169], s[24:25], v[170:171]
	s_delay_alu instid0(VALU_DEP_1) | instskip(SKIP_1) | instid1(VALU_DEP_1)
	v_add_f64 v[128:129], v[172:173], v[128:129]
	v_add_f64 v[172:173], v[13:14], -v[17:18]
	v_mul_f64 v[176:177], v[172:173], s[34:35]
	s_delay_alu instid0(VALU_DEP_1) | instskip(NEXT) | instid1(VALU_DEP_1)
	v_fma_f64 v[178:179], v[174:175], s[28:29], v[176:177]
	v_add_f64 v[128:129], v[178:179], v[128:129]
	v_add_f64 v[178:179], v[13:14], v[17:18]
	;; [unrolled: 1-line block ×3, first 2 shown]
	s_delay_alu instid0(VALU_DEP_2) | instskip(NEXT) | instid1(VALU_DEP_2)
	v_mul_f64 v[182:183], v[178:179], s[28:29]
	v_add_f64 v[13:14], v[13:14], v[17:18]
	v_add_f64 v[17:18], v[15:16], v[23:24]
	s_delay_alu instid0(VALU_DEP_3) | instskip(NEXT) | instid1(VALU_DEP_3)
	v_fma_f64 v[184:185], v[180:181], s[42:43], v[182:183]
	v_add_f64 v[13:14], v[13:14], v[31:32]
	s_delay_alu instid0(VALU_DEP_3) | instskip(NEXT) | instid1(VALU_DEP_3)
	v_mul_f64 v[15:16], v[17:18], v[56:57]
	v_add_f64 v[7:8], v[184:185], v[7:8]
	v_mul_f64 v[184:185], v[128:129], v[5:6]
	s_delay_alu instid0(VALU_DEP_4) | instskip(NEXT) | instid1(VALU_DEP_3)
	v_add_f64 v[13:14], v[13:14], v[37:38]
	v_mul_f64 v[5:6], v[7:8], v[5:6]
	s_delay_alu instid0(VALU_DEP_3) | instskip(SKIP_1) | instid1(VALU_DEP_4)
	v_fma_f64 v[7:8], v[7:8], v[63:64], v[184:185]
	v_mul_f64 v[184:185], v[99:100], s[18:19]
	v_add_f64 v[13:14], v[13:14], v[45:46]
	s_delay_alu instid0(VALU_DEP_4) | instskip(SKIP_1) | instid1(VALU_DEP_4)
	v_fma_f64 v[5:6], v[128:129], v[63:64], -v[5:6]
	v_mul_f64 v[128:129], v[95:96], s[2:3]
	v_fma_f64 v[186:187], v[105:106], s[20:21], v[184:185]
	s_delay_alu instid0(VALU_DEP_4) | instskip(NEXT) | instid1(VALU_DEP_3)
	v_add_f64 v[13:14], v[13:14], v[51:52]
	v_fma_f64 v[63:64], v[103:104], s[22:23], v[128:129]
	s_delay_alu instid0(VALU_DEP_2) | instskip(NEXT) | instid1(VALU_DEP_2)
	v_add_f64 v[13:14], v[13:14], v[21:22]
	v_add_f64 v[63:64], v[3:4], v[63:64]
	s_delay_alu instid0(VALU_DEP_2) | instskip(SKIP_1) | instid1(VALU_DEP_3)
	v_mul_f64 v[19:20], v[13:14], v[56:57]
	v_fma_f64 v[15:16], v[13:14], v[49:50], v[15:16]
	v_add_f64 v[63:64], v[186:187], v[63:64]
	v_mul_f64 v[186:187], v[107:108], s[6:7]
	s_delay_alu instid0(VALU_DEP_4) | instskip(NEXT) | instid1(VALU_DEP_2)
	v_fma_f64 v[13:14], v[17:18], v[49:50], -v[19:20]
	v_fma_f64 v[188:189], v[109:110], s[2:3], v[186:187]
	s_delay_alu instid0(VALU_DEP_1) | instskip(NEXT) | instid1(VALU_DEP_1)
	v_add_f64 v[188:189], v[1:2], v[188:189]
	v_add_f64 v[188:189], v[192:193], v[188:189]
	v_mul_f64 v[192:193], v[136:137], s[28:29]
	s_delay_alu instid0(VALU_DEP_1) | instskip(NEXT) | instid1(VALU_DEP_1)
	v_fma_f64 v[194:195], v[138:139], s[42:43], v[192:193]
	v_add_f64 v[63:64], v[194:195], v[63:64]
	v_mul_f64 v[194:195], v[142:143], s[34:35]
	s_delay_alu instid0(VALU_DEP_1) | instskip(NEXT) | instid1(VALU_DEP_1)
	v_fma_f64 v[196:197], v[144:145], s[28:29], v[194:195]
	v_add_f64 v[188:189], v[196:197], v[188:189]
	v_mul_f64 v[196:197], v[148:149], s[24:25]
	s_delay_alu instid0(VALU_DEP_1) | instskip(NEXT) | instid1(VALU_DEP_1)
	v_fma_f64 v[198:199], v[150:151], s[26:27], v[196:197]
	v_add_f64 v[63:64], v[198:199], v[63:64]
	v_mul_f64 v[198:199], v[154:155], s[38:39]
	s_delay_alu instid0(VALU_DEP_1) | instskip(NEXT) | instid1(VALU_DEP_1)
	v_fma_f64 v[200:201], v[156:157], s[24:25], v[198:199]
	v_add_f64 v[188:189], v[200:201], v[188:189]
	v_mul_f64 v[200:201], v[160:161], s[10:11]
	s_delay_alu instid0(VALU_DEP_1) | instskip(NEXT) | instid1(VALU_DEP_1)
	v_fma_f64 v[202:203], v[162:163], s[30:31], v[200:201]
	v_add_f64 v[63:64], v[202:203], v[63:64]
	v_mul_f64 v[202:203], v[166:167], s[16:17]
	s_delay_alu instid0(VALU_DEP_1) | instskip(NEXT) | instid1(VALU_DEP_1)
	v_fma_f64 v[204:205], v[168:169], s[10:11], v[202:203]
	v_add_f64 v[188:189], v[204:205], v[188:189]
	v_mul_f64 v[204:205], v[172:173], s[36:37]
	s_delay_alu instid0(VALU_DEP_1) | instskip(NEXT) | instid1(VALU_DEP_1)
	v_fma_f64 v[206:207], v[174:175], s[0:1], v[204:205]
	v_add_f64 v[188:189], v[206:207], v[188:189]
	v_mul_f64 v[206:207], v[178:179], s[0:1]
	s_delay_alu instid0(VALU_DEP_1) | instskip(NEXT) | instid1(VALU_DEP_1)
	v_fma_f64 v[208:209], v[180:181], s[4:5], v[206:207]
	v_add_f64 v[63:64], v[208:209], v[63:64]
	s_delay_alu instid0(VALU_DEP_4) | instskip(NEXT) | instid1(VALU_DEP_2)
	v_mul_f64 v[208:209], v[188:189], v[65:66]
	v_mul_f64 v[210:211], v[63:64], v[65:66]
	s_delay_alu instid0(VALU_DEP_2) | instskip(SKIP_1) | instid1(VALU_DEP_3)
	v_fma_f64 v[65:66], v[63:64], v[67:68], v[208:209]
	v_mul_f64 v[208:209], v[99:100], s[28:29]
	v_fma_f64 v[63:64], v[188:189], v[67:68], -v[210:211]
	v_mul_f64 v[188:189], v[95:96], s[10:11]
	s_delay_alu instid0(VALU_DEP_3) | instskip(NEXT) | instid1(VALU_DEP_2)
	v_fma_f64 v[210:211], v[105:106], s[42:43], v[208:209]
	v_fma_f64 v[67:68], v[103:104], s[16:17], v[188:189]
	s_delay_alu instid0(VALU_DEP_1) | instskip(NEXT) | instid1(VALU_DEP_1)
	v_add_f64 v[67:68], v[3:4], v[67:68]
	v_add_f64 v[67:68], v[210:211], v[67:68]
	v_mul_f64 v[210:211], v[107:108], s[30:31]
	s_delay_alu instid0(VALU_DEP_1) | instskip(NEXT) | instid1(VALU_DEP_1)
	v_fma_f64 v[212:213], v[109:110], s[10:11], v[210:211]
	v_add_f64 v[212:213], v[1:2], v[212:213]
	s_delay_alu instid0(VALU_DEP_1) | instskip(SKIP_1) | instid1(VALU_DEP_1)
	v_add_f64 v[212:213], v[216:217], v[212:213]
	v_mul_f64 v[216:217], v[136:137], s[18:19]
	v_fma_f64 v[218:219], v[138:139], s[40:41], v[216:217]
	s_delay_alu instid0(VALU_DEP_1) | instskip(SKIP_1) | instid1(VALU_DEP_1)
	v_add_f64 v[67:68], v[218:219], v[67:68]
	v_mul_f64 v[218:219], v[142:143], s[20:21]
	v_fma_f64 v[220:221], v[144:145], s[18:19], v[218:219]
	s_delay_alu instid0(VALU_DEP_1) | instskip(SKIP_1) | instid1(VALU_DEP_1)
	v_add_f64 v[212:213], v[220:221], v[212:213]
	v_mul_f64 v[220:221], v[148:149], s[0:1]
	v_fma_f64 v[222:223], v[150:151], s[4:5], v[220:221]
	s_delay_alu instid0(VALU_DEP_1) | instskip(SKIP_1) | instid1(VALU_DEP_1)
	v_add_f64 v[67:68], v[222:223], v[67:68]
	v_mul_f64 v[222:223], v[154:155], s[36:37]
	v_fma_f64 v[224:225], v[156:157], s[0:1], v[222:223]
	s_delay_alu instid0(VALU_DEP_1) | instskip(SKIP_1) | instid1(VALU_DEP_1)
	v_add_f64 v[212:213], v[224:225], v[212:213]
	v_mul_f64 v[224:225], v[160:161], s[2:3]
	v_fma_f64 v[226:227], v[162:163], s[22:23], v[224:225]
	s_delay_alu instid0(VALU_DEP_1) | instskip(SKIP_1) | instid1(VALU_DEP_1)
	v_add_f64 v[67:68], v[226:227], v[67:68]
	v_mul_f64 v[226:227], v[166:167], s[6:7]
	v_fma_f64 v[228:229], v[168:169], s[2:3], v[226:227]
	s_delay_alu instid0(VALU_DEP_1) | instskip(SKIP_1) | instid1(VALU_DEP_1)
	v_add_f64 v[212:213], v[228:229], v[212:213]
	v_mul_f64 v[228:229], v[172:173], s[26:27]
	v_fma_f64 v[230:231], v[174:175], s[24:25], v[228:229]
	s_delay_alu instid0(VALU_DEP_1) | instskip(SKIP_1) | instid1(VALU_DEP_1)
	v_add_f64 v[212:213], v[230:231], v[212:213]
	v_mul_f64 v[230:231], v[178:179], s[24:25]
	v_fma_f64 v[232:233], v[180:181], s[38:39], v[230:231]
	s_delay_alu instid0(VALU_DEP_1) | instskip(NEXT) | instid1(VALU_DEP_4)
	v_add_f64 v[67:68], v[232:233], v[67:68]
	v_mul_f64 v[232:233], v[212:213], v[69:70]
	s_delay_alu instid0(VALU_DEP_2) | instskip(NEXT) | instid1(VALU_DEP_2)
	v_mul_f64 v[234:235], v[67:68], v[69:70]
	v_fma_f64 v[69:70], v[67:68], v[71:72], v[232:233]
	s_delay_alu instid0(VALU_DEP_2) | instskip(SKIP_4) | instid1(VALU_DEP_4)
	v_fma_f64 v[67:68], v[212:213], v[71:72], -v[234:235]
	v_fma_f64 v[71:72], v[103:104], s[4:5], v[97:98]
	v_fma_f64 v[97:98], v[105:106], s[6:7], v[101:102]
	v_fma_f64 v[101:102], v[132:133], s[2:3], -v[134:135]
	v_mul_f64 v[134:135], v[107:108], s[40:41]
	v_add_f64 v[71:72], v[3:4], v[71:72]
	s_delay_alu instid0(VALU_DEP_2) | instskip(NEXT) | instid1(VALU_DEP_2)
	v_fma_f64 v[19:20], v[109:110], s[18:19], v[134:135]
	v_add_f64 v[71:72], v[97:98], v[71:72]
	v_fma_f64 v[97:98], v[109:110], s[0:1], -v[111:112]
	s_delay_alu instid0(VALU_DEP_1) | instskip(NEXT) | instid1(VALU_DEP_1)
	v_add_f64 v[97:98], v[1:2], v[97:98]
	v_add_f64 v[97:98], v[101:102], v[97:98]
	v_fma_f64 v[101:102], v[138:139], s[30:31], v[140:141]
	v_mul_f64 v[140:141], v[130:131], s[38:39]
	s_delay_alu instid0(VALU_DEP_2) | instskip(SKIP_2) | instid1(VALU_DEP_2)
	v_add_f64 v[71:72], v[101:102], v[71:72]
	v_fma_f64 v[101:102], v[144:145], s[10:11], -v[146:147]
	v_mul_f64 v[146:147], v[136:137], s[0:1]
	v_add_f64 v[97:98], v[101:102], v[97:98]
	v_fma_f64 v[101:102], v[150:151], s[40:41], v[152:153]
	v_mul_f64 v[152:153], v[142:143], s[36:37]
	s_delay_alu instid0(VALU_DEP_4) | instskip(NEXT) | instid1(VALU_DEP_3)
	v_fma_f64 v[21:22], v[138:139], s[4:5], v[146:147]
	v_add_f64 v[71:72], v[101:102], v[71:72]
	v_fma_f64 v[101:102], v[156:157], s[18:19], -v[158:159]
	v_mul_f64 v[158:159], v[148:149], s[10:11]
	v_fma_f64 v[23:24], v[144:145], s[0:1], v[152:153]
	s_delay_alu instid0(VALU_DEP_3) | instskip(SKIP_2) | instid1(VALU_DEP_2)
	v_add_f64 v[97:98], v[101:102], v[97:98]
	v_fma_f64 v[101:102], v[162:163], s[26:27], v[164:165]
	v_mul_f64 v[164:165], v[154:155], s[30:31]
	v_add_f64 v[71:72], v[101:102], v[71:72]
	v_fma_f64 v[101:102], v[168:169], s[24:25], -v[170:171]
	v_mul_f64 v[170:171], v[160:161], s[28:29]
	s_delay_alu instid0(VALU_DEP_2) | instskip(SKIP_2) | instid1(VALU_DEP_2)
	v_add_f64 v[97:98], v[101:102], v[97:98]
	v_fma_f64 v[101:102], v[174:175], s[28:29], -v[176:177]
	v_mul_f64 v[176:177], v[166:167], s[42:43]
	v_add_f64 v[97:98], v[101:102], v[97:98]
	v_fma_f64 v[101:102], v[180:181], s[34:35], v[182:183]
	v_mul_f64 v[182:183], v[172:173], s[22:23]
	s_delay_alu instid0(VALU_DEP_2) | instskip(NEXT) | instid1(VALU_DEP_4)
	v_add_f64 v[71:72], v[101:102], v[71:72]
	v_mul_f64 v[101:102], v[73:74], v[97:98]
	s_delay_alu instid0(VALU_DEP_2) | instskip(NEXT) | instid1(VALU_DEP_2)
	v_mul_f64 v[111:112], v[73:74], v[71:72]
	v_fma_f64 v[73:74], v[77:78], v[71:72], v[101:102]
	v_fma_f64 v[101:102], v[132:133], s[18:19], -v[190:191]
	v_mul_f64 v[190:191], v[130:131], s[16:17]
	s_delay_alu instid0(VALU_DEP_4)
	v_fma_f64 v[71:72], v[77:78], v[97:98], -v[111:112]
	v_fma_f64 v[77:78], v[103:104], s[6:7], v[128:129]
	v_fma_f64 v[97:98], v[105:106], s[40:41], v[184:185]
	v_mul_f64 v[111:112], v[95:96], s[18:19]
	v_mul_f64 v[128:129], v[99:100], s[24:25]
	;; [unrolled: 1-line block ×3, first 2 shown]
	v_add_f64 v[77:78], v[3:4], v[77:78]
	s_delay_alu instid0(VALU_DEP_4) | instskip(NEXT) | instid1(VALU_DEP_2)
	v_fma_f64 v[17:18], v[103:104], s[20:21], v[111:112]
	v_add_f64 v[77:78], v[97:98], v[77:78]
	v_fma_f64 v[97:98], v[109:110], s[2:3], -v[186:187]
	v_mul_f64 v[186:187], v[99:100], s[10:11]
	s_delay_alu instid0(VALU_DEP_2) | instskip(NEXT) | instid1(VALU_DEP_1)
	v_add_f64 v[97:98], v[1:2], v[97:98]
	v_add_f64 v[97:98], v[101:102], v[97:98]
	v_fma_f64 v[101:102], v[138:139], s[34:35], v[192:193]
	v_fma_f64 v[192:193], v[132:133], s[10:11], -v[190:191]
	s_delay_alu instid0(VALU_DEP_2) | instskip(SKIP_1) | instid1(VALU_DEP_1)
	v_add_f64 v[77:78], v[101:102], v[77:78]
	v_fma_f64 v[101:102], v[144:145], s[28:29], -v[194:195]
	v_add_f64 v[97:98], v[101:102], v[97:98]
	v_fma_f64 v[101:102], v[150:151], s[38:39], v[196:197]
	s_delay_alu instid0(VALU_DEP_1) | instskip(SKIP_1) | instid1(VALU_DEP_1)
	v_add_f64 v[77:78], v[101:102], v[77:78]
	v_fma_f64 v[101:102], v[156:157], s[24:25], -v[198:199]
	v_add_f64 v[97:98], v[101:102], v[97:98]
	v_fma_f64 v[101:102], v[162:163], s[16:17], v[200:201]
	s_delay_alu instid0(VALU_DEP_1) | instskip(SKIP_1) | instid1(VALU_DEP_1)
	v_add_f64 v[77:78], v[101:102], v[77:78]
	v_fma_f64 v[101:102], v[168:169], s[10:11], -v[202:203]
	v_add_f64 v[97:98], v[101:102], v[97:98]
	v_fma_f64 v[101:102], v[174:175], s[0:1], -v[204:205]
	s_delay_alu instid0(VALU_DEP_1) | instskip(SKIP_1) | instid1(VALU_DEP_1)
	v_add_f64 v[97:98], v[101:102], v[97:98]
	v_fma_f64 v[101:102], v[180:181], s[36:37], v[206:207]
	v_add_f64 v[77:78], v[101:102], v[77:78]
	s_delay_alu instid0(VALU_DEP_3) | instskip(NEXT) | instid1(VALU_DEP_2)
	v_mul_f64 v[101:102], v[97:98], v[75:76]
	v_mul_f64 v[75:76], v[77:78], v[75:76]
	s_delay_alu instid0(VALU_DEP_2) | instskip(SKIP_1) | instid1(VALU_DEP_3)
	v_fma_f64 v[77:78], v[77:78], v[81:82], v[101:102]
	v_fma_f64 v[101:102], v[132:133], s[28:29], -v[214:215]
	v_fma_f64 v[75:76], v[97:98], v[81:82], -v[75:76]
	v_fma_f64 v[81:82], v[103:104], s[30:31], v[188:189]
	v_fma_f64 v[97:98], v[105:106], s[34:35], v[208:209]
	v_mul_f64 v[188:189], v[107:108], s[26:27]
	s_delay_alu instid0(VALU_DEP_3) | instskip(NEXT) | instid1(VALU_DEP_1)
	v_add_f64 v[81:82], v[3:4], v[81:82]
	v_add_f64 v[81:82], v[97:98], v[81:82]
	v_fma_f64 v[97:98], v[109:110], s[10:11], -v[210:211]
	s_delay_alu instid0(VALU_DEP_1) | instskip(NEXT) | instid1(VALU_DEP_1)
	v_add_f64 v[97:98], v[1:2], v[97:98]
	v_add_f64 v[97:98], v[101:102], v[97:98]
	v_fma_f64 v[101:102], v[138:139], s[20:21], v[216:217]
	s_delay_alu instid0(VALU_DEP_1) | instskip(SKIP_1) | instid1(VALU_DEP_1)
	v_add_f64 v[81:82], v[101:102], v[81:82]
	v_fma_f64 v[101:102], v[144:145], s[18:19], -v[218:219]
	v_add_f64 v[97:98], v[101:102], v[97:98]
	v_fma_f64 v[101:102], v[150:151], s[36:37], v[220:221]
	s_delay_alu instid0(VALU_DEP_1) | instskip(SKIP_1) | instid1(VALU_DEP_1)
	v_add_f64 v[81:82], v[101:102], v[81:82]
	v_fma_f64 v[101:102], v[156:157], s[0:1], -v[222:223]
	;; [unrolled: 5-line block ×3, first 2 shown]
	v_add_f64 v[97:98], v[101:102], v[97:98]
	v_fma_f64 v[101:102], v[174:175], s[24:25], -v[228:229]
	s_delay_alu instid0(VALU_DEP_1) | instskip(SKIP_1) | instid1(VALU_DEP_1)
	v_add_f64 v[97:98], v[101:102], v[97:98]
	v_fma_f64 v[101:102], v[180:181], s[26:27], v[230:231]
	v_add_f64 v[81:82], v[101:102], v[81:82]
	s_delay_alu instid0(VALU_DEP_3) | instskip(NEXT) | instid1(VALU_DEP_2)
	v_mul_f64 v[101:102], v[97:98], v[79:80]
	v_mul_f64 v[79:80], v[81:82], v[79:80]
	s_delay_alu instid0(VALU_DEP_2) | instskip(SKIP_1) | instid1(VALU_DEP_3)
	v_fma_f64 v[81:82], v[81:82], v[85:86], v[101:102]
	v_fma_f64 v[101:102], v[132:133], s[24:25], -v[140:141]
	v_fma_f64 v[79:80], v[97:98], v[85:86], -v[79:80]
	v_fma_f64 v[85:86], v[103:104], s[40:41], v[111:112]
	v_fma_f64 v[97:98], v[105:106], s[38:39], v[128:129]
	s_delay_alu instid0(VALU_DEP_2) | instskip(NEXT) | instid1(VALU_DEP_1)
	v_add_f64 v[85:86], v[3:4], v[85:86]
	v_add_f64 v[85:86], v[97:98], v[85:86]
	v_fma_f64 v[97:98], v[109:110], s[18:19], -v[134:135]
	s_delay_alu instid0(VALU_DEP_1) | instskip(NEXT) | instid1(VALU_DEP_1)
	v_add_f64 v[97:98], v[1:2], v[97:98]
	v_add_f64 v[97:98], v[101:102], v[97:98]
	v_fma_f64 v[101:102], v[138:139], s[36:37], v[146:147]
	s_delay_alu instid0(VALU_DEP_1) | instskip(SKIP_1) | instid1(VALU_DEP_1)
	v_add_f64 v[85:86], v[101:102], v[85:86]
	v_fma_f64 v[101:102], v[144:145], s[0:1], -v[152:153]
	v_add_f64 v[97:98], v[101:102], v[97:98]
	v_fma_f64 v[101:102], v[150:151], s[30:31], v[158:159]
	s_delay_alu instid0(VALU_DEP_1) | instskip(SKIP_1) | instid1(VALU_DEP_1)
	v_add_f64 v[85:86], v[101:102], v[85:86]
	v_fma_f64 v[101:102], v[156:157], s[10:11], -v[164:165]
	;; [unrolled: 5-line block ×3, first 2 shown]
	v_add_f64 v[97:98], v[101:102], v[97:98]
	v_fma_f64 v[101:102], v[174:175], s[2:3], -v[182:183]
	s_delay_alu instid0(VALU_DEP_1) | instskip(SKIP_1) | instid1(VALU_DEP_1)
	v_add_f64 v[97:98], v[101:102], v[97:98]
	v_fma_f64 v[101:102], v[180:181], s[22:23], v[184:185]
	v_add_f64 v[85:86], v[101:102], v[85:86]
	s_delay_alu instid0(VALU_DEP_3) | instskip(NEXT) | instid1(VALU_DEP_2)
	v_mul_f64 v[101:102], v[97:98], v[83:84]
	v_mul_f64 v[83:84], v[85:86], v[83:84]
	s_delay_alu instid0(VALU_DEP_2) | instskip(SKIP_2) | instid1(VALU_DEP_4)
	v_fma_f64 v[85:86], v[85:86], v[89:90], v[101:102]
	v_mul_f64 v[101:102], v[95:96], s[24:25]
	v_mul_f64 v[95:96], v[95:96], s[28:29]
	v_fma_f64 v[83:84], v[97:98], v[89:90], -v[83:84]
	v_fma_f64 v[97:98], v[105:106], s[16:17], v[186:187]
	s_delay_alu instid0(VALU_DEP_4) | instskip(NEXT) | instid1(VALU_DEP_1)
	v_fma_f64 v[89:90], v[103:104], s[26:27], v[101:102]
	v_add_f64 v[89:90], v[3:4], v[89:90]
	s_delay_alu instid0(VALU_DEP_1) | instskip(SKIP_1) | instid1(VALU_DEP_1)
	v_add_f64 v[89:90], v[97:98], v[89:90]
	v_fma_f64 v[97:98], v[109:110], s[24:25], -v[188:189]
	v_add_f64 v[97:98], v[1:2], v[97:98]
	s_delay_alu instid0(VALU_DEP_1) | instskip(SKIP_2) | instid1(VALU_DEP_2)
	v_add_f64 v[97:98], v[192:193], v[97:98]
	v_mul_f64 v[192:193], v[136:137], s[2:3]
	v_mul_f64 v[136:137], v[136:137], s[24:25]
	v_fma_f64 v[194:195], v[138:139], s[6:7], v[192:193]
	s_delay_alu instid0(VALU_DEP_1) | instskip(SKIP_2) | instid1(VALU_DEP_2)
	v_add_f64 v[89:90], v[194:195], v[89:90]
	v_mul_f64 v[194:195], v[142:143], s[6:7]
	v_mul_f64 v[142:143], v[142:143], s[26:27]
	v_fma_f64 v[196:197], v[144:145], s[2:3], -v[194:195]
	s_delay_alu instid0(VALU_DEP_1) | instskip(SKIP_2) | instid1(VALU_DEP_2)
	v_add_f64 v[97:98], v[196:197], v[97:98]
	v_mul_f64 v[196:197], v[148:149], s[28:29]
	v_mul_f64 v[148:149], v[148:149], s[2:3]
	v_fma_f64 v[198:199], v[150:151], s[42:43], v[196:197]
	s_delay_alu instid0(VALU_DEP_1) | instskip(SKIP_2) | instid1(VALU_DEP_2)
	v_add_f64 v[89:90], v[198:199], v[89:90]
	v_mul_f64 v[198:199], v[154:155], s[42:43]
	v_mul_f64 v[154:155], v[154:155], s[22:23]
	v_fma_f64 v[200:201], v[156:157], s[28:29], -v[198:199]
	;; [unrolled: 10-line block ×3, first 2 shown]
	s_delay_alu instid0(VALU_DEP_1) | instskip(SKIP_2) | instid1(VALU_DEP_2)
	v_add_f64 v[97:98], v[204:205], v[97:98]
	v_mul_f64 v[204:205], v[172:173], s[40:41]
	v_mul_f64 v[172:173], v[172:173], s[16:17]
	v_fma_f64 v[206:207], v[174:175], s[18:19], -v[204:205]
	s_delay_alu instid0(VALU_DEP_1) | instskip(SKIP_2) | instid1(VALU_DEP_2)
	v_add_f64 v[97:98], v[206:207], v[97:98]
	v_mul_f64 v[206:207], v[178:179], s[18:19]
	v_mul_f64 v[178:179], v[178:179], s[10:11]
	v_fma_f64 v[208:209], v[180:181], s[40:41], v[206:207]
	s_delay_alu instid0(VALU_DEP_1) | instskip(SKIP_1) | instid1(VALU_DEP_2)
	v_add_f64 v[89:90], v[208:209], v[89:90]
	v_mul_f64 v[208:209], v[97:98], v[87:88]
	v_mul_f64 v[87:88], v[89:90], v[87:88]
	s_delay_alu instid0(VALU_DEP_2) | instskip(NEXT) | instid1(VALU_DEP_2)
	v_fma_f64 v[89:90], v[89:90], v[93:94], v[208:209]
	v_fma_f64 v[87:88], v[97:98], v[93:94], -v[87:88]
	v_mul_f64 v[97:98], v[99:100], s[0:1]
	v_fma_f64 v[93:94], v[103:104], s[34:35], v[95:96]
	v_fma_f64 v[95:96], v[103:104], s[42:43], v[95:96]
	s_delay_alu instid0(VALU_DEP_3) | instskip(NEXT) | instid1(VALU_DEP_3)
	v_fma_f64 v[99:100], v[105:106], s[36:37], v[97:98]
	v_add_f64 v[93:94], v[3:4], v[93:94]
	v_fma_f64 v[97:98], v[105:106], s[4:5], v[97:98]
	s_delay_alu instid0(VALU_DEP_4) | instskip(NEXT) | instid1(VALU_DEP_3)
	v_add_f64 v[95:96], v[3:4], v[95:96]
	v_add_f64 v[93:94], v[99:100], v[93:94]
	v_mul_f64 v[99:100], v[107:108], s[34:35]
	v_mul_f64 v[107:108], v[130:131], s[36:37]
	s_delay_alu instid0(VALU_DEP_4) | instskip(NEXT) | instid1(VALU_DEP_3)
	v_add_f64 v[95:96], v[97:98], v[95:96]
	v_fma_f64 v[97:98], v[109:110], s[28:29], v[99:100]
	v_fma_f64 v[130:131], v[109:110], s[28:29], -v[99:100]
	s_delay_alu instid0(VALU_DEP_4) | instskip(SKIP_1) | instid1(VALU_DEP_4)
	v_fma_f64 v[99:100], v[132:133], s[0:1], v[107:108]
	v_fma_f64 v[208:209], v[132:133], s[0:1], -v[107:108]
	v_add_f64 v[97:98], v[1:2], v[97:98]
	s_delay_alu instid0(VALU_DEP_4) | instskip(NEXT) | instid1(VALU_DEP_2)
	v_add_f64 v[130:131], v[1:2], v[130:131]
	v_add_f64 v[97:98], v[99:100], v[97:98]
	v_fma_f64 v[99:100], v[138:139], s[38:39], v[136:137]
	s_delay_alu instid0(VALU_DEP_3) | instskip(SKIP_1) | instid1(VALU_DEP_3)
	v_add_f64 v[130:131], v[208:209], v[130:131]
	v_fma_f64 v[208:209], v[138:139], s[26:27], v[136:137]
	v_add_f64 v[95:96], v[99:100], v[95:96]
	v_fma_f64 v[99:100], v[144:145], s[24:25], v[142:143]
	s_delay_alu instid0(VALU_DEP_3) | instskip(SKIP_1) | instid1(VALU_DEP_3)
	v_add_f64 v[93:94], v[208:209], v[93:94]
	v_fma_f64 v[208:209], v[144:145], s[24:25], -v[142:143]
	v_add_f64 v[97:98], v[99:100], v[97:98]
	v_fma_f64 v[99:100], v[150:151], s[6:7], v[148:149]
	s_delay_alu instid0(VALU_DEP_3) | instskip(SKIP_1) | instid1(VALU_DEP_3)
	v_add_f64 v[130:131], v[208:209], v[130:131]
	v_fma_f64 v[208:209], v[150:151], s[22:23], v[148:149]
	v_add_f64 v[95:96], v[99:100], v[95:96]
	v_fma_f64 v[99:100], v[156:157], s[2:3], v[154:155]
	s_delay_alu instid0(VALU_DEP_3) | instskip(SKIP_1) | instid1(VALU_DEP_3)
	v_add_f64 v[93:94], v[208:209], v[93:94]
	v_fma_f64 v[208:209], v[156:157], s[2:3], -v[154:155]
	;; [unrolled: 10-line block ×3, first 2 shown]
	v_add_f64 v[97:98], v[99:100], v[97:98]
	v_fma_f64 v[99:100], v[174:175], s[10:11], v[172:173]
	s_delay_alu instid0(VALU_DEP_3) | instskip(SKIP_1) | instid1(VALU_DEP_3)
	v_add_f64 v[130:131], v[208:209], v[130:131]
	v_fma_f64 v[208:209], v[174:175], s[10:11], -v[172:173]
	v_add_f64 v[99:100], v[99:100], v[97:98]
	v_fma_f64 v[97:98], v[180:181], s[30:31], v[178:179]
	s_delay_alu instid0(VALU_DEP_3) | instskip(SKIP_1) | instid1(VALU_DEP_3)
	v_add_f64 v[130:131], v[208:209], v[130:131]
	v_fma_f64 v[208:209], v[180:181], s[16:17], v[178:179]
	v_add_f64 v[95:96], v[97:98], v[95:96]
	v_mul_f64 v[97:98], v[99:100], v[120:121]
	s_delay_alu instid0(VALU_DEP_3) | instskip(SKIP_1) | instid1(VALU_DEP_4)
	v_add_f64 v[93:94], v[208:209], v[93:94]
	v_mul_f64 v[208:209], v[130:131], v[126:127]
	v_mul_f64 v[107:108], v[95:96], v[120:121]
	s_delay_alu instid0(VALU_DEP_4) | instskip(NEXT) | instid1(VALU_DEP_4)
	v_fma_f64 v[97:98], v[95:96], v[124:125], v[97:98]
	v_mul_f64 v[126:127], v[93:94], v[126:127]
	s_delay_alu instid0(VALU_DEP_4) | instskip(NEXT) | instid1(VALU_DEP_4)
	v_fma_f64 v[93:94], v[93:94], v[91:92], v[208:209]
	v_fma_f64 v[95:96], v[99:100], v[124:125], -v[107:108]
	v_fma_f64 v[99:100], v[103:104], s[38:39], v[101:102]
	v_fma_f64 v[101:102], v[105:106], s[30:31], v[186:187]
	;; [unrolled: 1-line block ×3, first 2 shown]
	v_fma_f64 v[91:92], v[130:131], v[91:92], -v[126:127]
	s_delay_alu instid0(VALU_DEP_4) | instskip(SKIP_2) | instid1(VALU_DEP_3)
	v_add_f64 v[99:100], v[3:4], v[99:100]
	v_add_f64 v[3:4], v[3:4], v[17:18]
	v_fma_f64 v[17:18], v[132:133], s[24:25], v[140:141]
	v_add_f64 v[99:100], v[101:102], v[99:100]
	v_fma_f64 v[101:102], v[109:110], s[24:25], v[188:189]
	s_delay_alu instid0(VALU_DEP_1) | instskip(SKIP_2) | instid1(VALU_DEP_3)
	v_add_f64 v[101:102], v[1:2], v[101:102]
	v_add_f64 v[1:2], v[1:2], v[19:20]
	v_fma_f64 v[19:20], v[105:106], s[26:27], v[128:129]
	v_add_f64 v[101:102], v[107:108], v[101:102]
	s_delay_alu instid0(VALU_DEP_3) | instskip(NEXT) | instid1(VALU_DEP_3)
	v_add_f64 v[1:2], v[17:18], v[1:2]
	v_add_f64 v[3:4], v[19:20], v[3:4]
	v_fma_f64 v[107:108], v[138:139], s[22:23], v[192:193]
	v_fma_f64 v[17:18], v[150:151], s[16:17], v[158:159]
	v_fma_f64 v[19:20], v[156:157], s[10:11], v[164:165]
	v_add_f64 v[1:2], v[23:24], v[1:2]
	v_add_f64 v[3:4], v[21:22], v[3:4]
	;; [unrolled: 1-line block ×3, first 2 shown]
	v_fma_f64 v[107:108], v[144:145], s[2:3], v[194:195]
	v_fma_f64 v[21:22], v[162:163], s[34:35], v[170:171]
	;; [unrolled: 1-line block ×3, first 2 shown]
	v_add_f64 v[1:2], v[19:20], v[1:2]
	v_add_f64 v[3:4], v[17:18], v[3:4]
	v_fma_f64 v[17:18], v[180:181], s[6:7], v[184:185]
	v_add_f64 v[101:102], v[107:108], v[101:102]
	v_fma_f64 v[107:108], v[150:151], s[34:35], v[196:197]
	v_fma_f64 v[19:20], v[174:175], s[2:3], v[182:183]
	v_add_f64 v[1:2], v[23:24], v[1:2]
	v_add_f64 v[3:4], v[21:22], v[3:4]
	s_delay_alu instid0(VALU_DEP_4) | instskip(SKIP_1) | instid1(VALU_DEP_4)
	v_add_f64 v[99:100], v[107:108], v[99:100]
	v_fma_f64 v[107:108], v[156:157], s[28:29], v[198:199]
	v_add_f64 v[1:2], v[19:20], v[1:2]
	s_delay_alu instid0(VALU_DEP_4) | instskip(NEXT) | instid1(VALU_DEP_3)
	v_add_f64 v[3:4], v[17:18], v[3:4]
	v_add_f64 v[101:102], v[107:108], v[101:102]
	v_fma_f64 v[107:108], v[162:163], s[4:5], v[200:201]
	s_delay_alu instid0(VALU_DEP_4) | instskip(NEXT) | instid1(VALU_DEP_4)
	v_mul_f64 v[17:18], v[1:2], v[11:12]
	v_mul_f64 v[11:12], v[3:4], v[11:12]
	s_delay_alu instid0(VALU_DEP_3) | instskip(SKIP_1) | instid1(VALU_DEP_4)
	v_add_f64 v[99:100], v[107:108], v[99:100]
	v_fma_f64 v[107:108], v[168:169], s[0:1], v[202:203]
	v_fma_f64 v[3:4], v[3:4], v[9:10], v[17:18]
	s_delay_alu instid0(VALU_DEP_4) | instskip(SKIP_4) | instid1(VALU_DEP_4)
	v_fma_f64 v[1:2], v[1:2], v[9:10], -v[11:12]
	v_mad_u32_u24 v17, 0xa9, v0, v62
	v_add_nc_u32_e32 v0, s9, v53
	v_add_f64 v[101:102], v[107:108], v[101:102]
	v_fma_f64 v[107:108], v[174:175], s[18:19], v[204:205]
	v_add_nc_u32_e32 v18, 0x68, v17
	v_add_nc_u32_e32 v19, 0x75, v17
	;; [unrolled: 1-line block ×5, first 2 shown]
	v_mad_u64_u32 v[9:10], null, s8, v17, v[0:1]
	v_mov_b32_e32 v10, 0
	v_add_f64 v[107:108], v[107:108], v[101:102]
	s_delay_alu instid0(VALU_DEP_2) | instskip(SKIP_2) | instid1(VALU_DEP_3)
	v_lshlrev_b64 v[11:12], 4, v[9:10]
	v_fma_f64 v[101:102], v[180:181], s[20:21], v[206:207]
	v_add_nc_u32_e32 v9, 13, v17
	v_add_co_u32 v11, vcc_lo, s12, v11
	s_delay_alu instid0(VALU_DEP_4) | instskip(SKIP_4) | instid1(VALU_DEP_2)
	v_add_co_ci_u32_e32 v12, vcc_lo, s13, v12, vcc_lo
	global_store_b128 v[11:12], v[13:16], off
	v_mad_u64_u32 v[11:12], null, s8, v9, v[0:1]
	v_dual_mov_b32 v12, v10 :: v_dual_add_nc_u32 v9, 26, v17
	v_add_nc_u32_e32 v15, 0x5b, v17
	v_lshlrev_b64 v[11:12], 4, v[11:12]
	s_delay_alu instid0(VALU_DEP_2) | instskip(SKIP_2) | instid1(VALU_DEP_4)
	v_mad_u64_u32 v[13:14], null, s8, v15, v[0:1]
	v_mad_u64_u32 v[15:16], null, s8, v18, v[0:1]
	v_mov_b32_e32 v14, v10
	v_add_co_u32 v11, vcc_lo, s12, v11
	v_add_co_ci_u32_e32 v12, vcc_lo, s13, v12, vcc_lo
	v_mov_b32_e32 v16, v10
	global_store_b128 v[11:12], v[71:74], off
	v_mad_u64_u32 v[11:12], null, s8, v9, v[0:1]
	v_mov_b32_e32 v12, v10
	v_add_f64 v[99:100], v[101:102], v[99:100]
	v_add_nc_u32_e32 v9, 39, v17
	v_mul_f64 v[101:102], v[107:108], v[116:117]
	s_delay_alu instid0(VALU_DEP_4) | instskip(NEXT) | instid1(VALU_DEP_1)
	v_lshlrev_b64 v[11:12], 4, v[11:12]
	v_add_co_u32 v11, vcc_lo, s12, v11
	s_delay_alu instid0(VALU_DEP_2) | instskip(SKIP_3) | instid1(VALU_DEP_1)
	v_add_co_ci_u32_e32 v12, vcc_lo, s13, v12, vcc_lo
	global_store_b128 v[11:12], v[75:78], off
	v_mad_u64_u32 v[11:12], null, s8, v9, v[0:1]
	v_dual_mov_b32 v12, v10 :: v_dual_add_nc_u32 v9, 52, v17
	v_lshlrev_b64 v[11:12], 4, v[11:12]
	s_delay_alu instid0(VALU_DEP_1) | instskip(NEXT) | instid1(VALU_DEP_2)
	v_add_co_u32 v11, vcc_lo, s12, v11
	v_add_co_ci_u32_e32 v12, vcc_lo, s13, v12, vcc_lo
	v_mul_f64 v[116:117], v[99:100], v[116:117]
	global_store_b128 v[11:12], v[79:82], off
	v_mad_u64_u32 v[11:12], null, s8, v9, v[0:1]
	v_dual_mov_b32 v12, v10 :: v_dual_add_nc_u32 v9, 0x41, v17
	v_fma_f64 v[101:102], v[99:100], v[118:119], v[101:102]
	s_delay_alu instid0(VALU_DEP_2) | instskip(NEXT) | instid1(VALU_DEP_1)
	v_lshlrev_b64 v[11:12], 4, v[11:12]
	v_add_co_u32 v11, vcc_lo, s12, v11
	s_delay_alu instid0(VALU_DEP_2)
	v_add_co_ci_u32_e32 v12, vcc_lo, s13, v12, vcc_lo
	global_store_b128 v[11:12], v[83:86], off
	v_mad_u64_u32 v[11:12], null, s8, v9, v[0:1]
	v_dual_mov_b32 v12, v10 :: v_dual_add_nc_u32 v9, 0x4e, v17
	v_mad_u64_u32 v[17:18], null, s8, v19, v[0:1]
	v_mad_u64_u32 v[19:20], null, s8, v21, v[0:1]
	s_delay_alu instid0(VALU_DEP_3) | instskip(SKIP_3) | instid1(VALU_DEP_4)
	v_lshlrev_b64 v[11:12], 4, v[11:12]
	v_mad_u64_u32 v[21:22], null, s8, v23, v[0:1]
	v_mad_u64_u32 v[23:24], null, s8, v25, v[0:1]
	v_fma_f64 v[99:100], v[107:108], v[118:119], -v[116:117]
	v_add_co_u32 v11, vcc_lo, s12, v11
	v_add_co_ci_u32_e32 v12, vcc_lo, s13, v12, vcc_lo
	v_mov_b32_e32 v18, v10
	v_mov_b32_e32 v20, v10
	v_mov_b32_e32 v22, v10
	global_store_b128 v[11:12], v[87:90], off
	v_mad_u64_u32 v[11:12], null, s8, v9, v[0:1]
	v_mov_b32_e32 v12, v10
	v_mov_b32_e32 v24, v10
	s_delay_alu instid0(VALU_DEP_2)
	v_lshlrev_b64 v[9:10], 4, v[11:12]
	v_lshlrev_b64 v[11:12], 4, v[13:14]
	;; [unrolled: 1-line block ×6, first 2 shown]
	v_add_co_u32 v9, vcc_lo, s12, v9
	v_add_co_ci_u32_e32 v10, vcc_lo, s13, v10, vcc_lo
	v_add_co_u32 v11, vcc_lo, s12, v11
	v_add_co_ci_u32_e32 v12, vcc_lo, s13, v12, vcc_lo
	;; [unrolled: 2-line block ×4, first 2 shown]
	v_lshlrev_b64 v[21:22], 4, v[23:24]
	v_add_co_u32 v17, vcc_lo, s12, v17
	v_add_co_ci_u32_e32 v18, vcc_lo, s13, v18, vcc_lo
	v_add_co_u32 v19, vcc_lo, s12, v19
	v_add_co_ci_u32_e32 v20, vcc_lo, s13, v20, vcc_lo
	v_add_co_u32 v21, vcc_lo, s12, v21
	v_add_co_ci_u32_e32 v22, vcc_lo, s13, v22, vcc_lo
	s_clause 0x6
	global_store_b128 v[9:10], v[91:94], off
	global_store_b128 v[11:12], v[95:98], off
	;; [unrolled: 1-line block ×7, first 2 shown]
.LBB0_43:
	s_nop 0
	s_sendmsg sendmsg(MSG_DEALLOC_VGPRS)
	s_endpgm
	.section	.rodata,"a",@progbits
	.p2align	6, 0x0
	.amdhsa_kernel fft_rtc_fwd_len169_factors_13_13_wgs_156_tpt_13_dp_ip_CI_sbcc_twdbase6_3step_dirReg_intrinsicReadWrite
		.amdhsa_group_segment_fixed_size 0
		.amdhsa_private_segment_fixed_size 0
		.amdhsa_kernarg_size 96
		.amdhsa_user_sgpr_count 15
		.amdhsa_user_sgpr_dispatch_ptr 0
		.amdhsa_user_sgpr_queue_ptr 0
		.amdhsa_user_sgpr_kernarg_segment_ptr 1
		.amdhsa_user_sgpr_dispatch_id 0
		.amdhsa_user_sgpr_private_segment_size 0
		.amdhsa_wavefront_size32 1
		.amdhsa_uses_dynamic_stack 0
		.amdhsa_enable_private_segment 0
		.amdhsa_system_sgpr_workgroup_id_x 1
		.amdhsa_system_sgpr_workgroup_id_y 0
		.amdhsa_system_sgpr_workgroup_id_z 0
		.amdhsa_system_sgpr_workgroup_info 0
		.amdhsa_system_vgpr_workitem_id 0
		.amdhsa_next_free_vgpr 256
		.amdhsa_next_free_sgpr 45
		.amdhsa_reserve_vcc 1
		.amdhsa_float_round_mode_32 0
		.amdhsa_float_round_mode_16_64 0
		.amdhsa_float_denorm_mode_32 3
		.amdhsa_float_denorm_mode_16_64 3
		.amdhsa_dx10_clamp 1
		.amdhsa_ieee_mode 1
		.amdhsa_fp16_overflow 0
		.amdhsa_workgroup_processor_mode 1
		.amdhsa_memory_ordered 1
		.amdhsa_forward_progress 0
		.amdhsa_shared_vgpr_count 0
		.amdhsa_exception_fp_ieee_invalid_op 0
		.amdhsa_exception_fp_denorm_src 0
		.amdhsa_exception_fp_ieee_div_zero 0
		.amdhsa_exception_fp_ieee_overflow 0
		.amdhsa_exception_fp_ieee_underflow 0
		.amdhsa_exception_fp_ieee_inexact 0
		.amdhsa_exception_int_div_zero 0
	.end_amdhsa_kernel
	.text
.Lfunc_end0:
	.size	fft_rtc_fwd_len169_factors_13_13_wgs_156_tpt_13_dp_ip_CI_sbcc_twdbase6_3step_dirReg_intrinsicReadWrite, .Lfunc_end0-fft_rtc_fwd_len169_factors_13_13_wgs_156_tpt_13_dp_ip_CI_sbcc_twdbase6_3step_dirReg_intrinsicReadWrite
                                        ; -- End function
	.section	.AMDGPU.csdata,"",@progbits
; Kernel info:
; codeLenInByte = 14572
; NumSgprs: 47
; NumVgprs: 256
; ScratchSize: 0
; MemoryBound: 0
; FloatMode: 240
; IeeeMode: 1
; LDSByteSize: 0 bytes/workgroup (compile time only)
; SGPRBlocks: 5
; VGPRBlocks: 31
; NumSGPRsForWavesPerEU: 47
; NumVGPRsForWavesPerEU: 256
; Occupancy: 5
; WaveLimiterHint : 1
; COMPUTE_PGM_RSRC2:SCRATCH_EN: 0
; COMPUTE_PGM_RSRC2:USER_SGPR: 15
; COMPUTE_PGM_RSRC2:TRAP_HANDLER: 0
; COMPUTE_PGM_RSRC2:TGID_X_EN: 1
; COMPUTE_PGM_RSRC2:TGID_Y_EN: 0
; COMPUTE_PGM_RSRC2:TGID_Z_EN: 0
; COMPUTE_PGM_RSRC2:TIDIG_COMP_CNT: 0
	.text
	.p2alignl 7, 3214868480
	.fill 96, 4, 3214868480
	.type	__hip_cuid_46d0d97ee36a6fd9,@object ; @__hip_cuid_46d0d97ee36a6fd9
	.section	.bss,"aw",@nobits
	.globl	__hip_cuid_46d0d97ee36a6fd9
__hip_cuid_46d0d97ee36a6fd9:
	.byte	0                               ; 0x0
	.size	__hip_cuid_46d0d97ee36a6fd9, 1

	.ident	"AMD clang version 19.0.0git (https://github.com/RadeonOpenCompute/llvm-project roc-6.4.0 25133 c7fe45cf4b819c5991fe208aaa96edf142730f1d)"
	.section	".note.GNU-stack","",@progbits
	.addrsig
	.addrsig_sym __hip_cuid_46d0d97ee36a6fd9
	.amdgpu_metadata
---
amdhsa.kernels:
  - .args:
      - .actual_access:  read_only
        .address_space:  global
        .offset:         0
        .size:           8
        .value_kind:     global_buffer
      - .address_space:  global
        .offset:         8
        .size:           8
        .value_kind:     global_buffer
      - .offset:         16
        .size:           8
        .value_kind:     by_value
      - .actual_access:  read_only
        .address_space:  global
        .offset:         24
        .size:           8
        .value_kind:     global_buffer
      - .actual_access:  read_only
        .address_space:  global
        .offset:         32
        .size:           8
        .value_kind:     global_buffer
      - .offset:         40
        .size:           8
        .value_kind:     by_value
      - .actual_access:  read_only
        .address_space:  global
        .offset:         48
        .size:           8
        .value_kind:     global_buffer
      - .actual_access:  read_only
        .address_space:  global
        .offset:         56
        .size:           8
        .value_kind:     global_buffer
      - .offset:         64
        .size:           4
        .value_kind:     by_value
      - .actual_access:  read_only
        .address_space:  global
        .offset:         72
        .size:           8
        .value_kind:     global_buffer
      - .actual_access:  read_only
        .address_space:  global
        .offset:         80
        .size:           8
        .value_kind:     global_buffer
      - .address_space:  global
        .offset:         88
        .size:           8
        .value_kind:     global_buffer
    .group_segment_fixed_size: 0
    .kernarg_segment_align: 8
    .kernarg_segment_size: 96
    .language:       OpenCL C
    .language_version:
      - 2
      - 0
    .max_flat_workgroup_size: 156
    .name:           fft_rtc_fwd_len169_factors_13_13_wgs_156_tpt_13_dp_ip_CI_sbcc_twdbase6_3step_dirReg_intrinsicReadWrite
    .private_segment_fixed_size: 0
    .sgpr_count:     47
    .sgpr_spill_count: 0
    .symbol:         fft_rtc_fwd_len169_factors_13_13_wgs_156_tpt_13_dp_ip_CI_sbcc_twdbase6_3step_dirReg_intrinsicReadWrite.kd
    .uniform_work_group_size: 1
    .uses_dynamic_stack: false
    .vgpr_count:     256
    .vgpr_spill_count: 0
    .wavefront_size: 32
    .workgroup_processor_mode: 1
amdhsa.target:   amdgcn-amd-amdhsa--gfx1100
amdhsa.version:
  - 1
  - 2
...

	.end_amdgpu_metadata
